;; amdgpu-corpus repo=ROCm/rccl kind=compiled arch=gfx1100 opt=O3
	.text
	.amdgcn_target "amdgcn-amd-amdhsa--gfx1100"
	.amdhsa_code_object_version 6
	.p2align	2                               ; -- Begin function __ockl_fprintf_append_string_n
	.type	__ockl_fprintf_append_string_n,@function
__ockl_fprintf_append_string_n:         ; @__ockl_fprintf_append_string_n
; %bb.0:
	s_waitcnt vmcnt(0) expcnt(0) lgkmcnt(0)
	v_dual_mov_b32 v8, v3 :: v_dual_mov_b32 v7, v2
	v_or_b32_e32 v2, 2, v0
	v_cmp_eq_u32_e32 vcc_lo, 0, v6
	v_mbcnt_lo_u32_b32 v33, -1, 0
	s_mov_b32 s11, 0
	s_mov_b32 s0, exec_lo
	v_cndmask_b32_e32 v0, v2, v0, vcc_lo
	v_cmpx_ne_u64_e32 0, v[7:8]
	s_xor_b32 s10, exec_lo, s0
	s_cbranch_execz .LBB0_86
; %bb.1:
	s_load_b64 s[2:3], s[8:9], 0x50
	v_dual_mov_b32 v11, 2 :: v_dual_and_b32 v6, 2, v0
	v_mov_b32_e32 v10, 0
	v_and_b32_e32 v0, -3, v0
	v_mov_b32_e32 v12, 1
	s_mov_b32 s12, 0
	s_branch .LBB0_3
.LBB0_2:                                ;   in Loop: Header=BB0_3 Depth=1
	s_or_b32 exec_lo, exec_lo, s1
	v_sub_co_u32 v4, vcc_lo, v4, v29
	v_sub_co_ci_u32_e32 v5, vcc_lo, v5, v30, vcc_lo
	v_add_co_u32 v7, s0, v7, v29
	s_delay_alu instid0(VALU_DEP_1) | instskip(NEXT) | instid1(VALU_DEP_3)
	v_add_co_ci_u32_e64 v8, s0, v8, v30, s0
	v_cmp_eq_u64_e32 vcc_lo, 0, v[4:5]
	s_or_b32 s12, vcc_lo, s12
	s_delay_alu instid0(SALU_CYCLE_1)
	s_and_not1_b32 exec_lo, exec_lo, s12
	s_cbranch_execz .LBB0_85
.LBB0_3:                                ; =>This Loop Header: Depth=1
                                        ;     Child Loop BB0_6 Depth 2
                                        ;     Child Loop BB0_14 Depth 2
	;; [unrolled: 1-line block ×11, first 2 shown]
	v_cmp_gt_u64_e32 vcc_lo, 56, v[4:5]
	s_mov_b32 s1, exec_lo
                                        ; implicit-def: $vgpr2_vgpr3
                                        ; implicit-def: $sgpr4
	v_dual_cndmask_b32 v30, 0, v5 :: v_dual_cndmask_b32 v29, 56, v4
	v_cmpx_gt_u64_e32 8, v[4:5]
	s_xor_b32 s1, exec_lo, s1
	s_cbranch_execz .LBB0_9
; %bb.4:                                ;   in Loop: Header=BB0_3 Depth=1
	s_waitcnt vmcnt(0)
	v_mov_b32_e32 v2, 0
	v_mov_b32_e32 v3, 0
	s_mov_b64 s[4:5], 0
	s_mov_b32 s6, exec_lo
	v_cmpx_ne_u64_e32 0, v[4:5]
	s_cbranch_execz .LBB0_8
; %bb.5:                                ;   in Loop: Header=BB0_3 Depth=1
	v_lshlrev_b64 v[13:14], 3, v[29:30]
	v_dual_mov_b32 v2, 0 :: v_dual_mov_b32 v15, v8
	v_dual_mov_b32 v3, 0 :: v_dual_mov_b32 v14, v7
	s_mov_b32 s7, 0
	.p2align	6
.LBB0_6:                                ;   Parent Loop BB0_3 Depth=1
                                        ; =>  This Inner Loop Header: Depth=2
	flat_load_u8 v9, v[14:15]
	v_mov_b32_e32 v17, s11
	v_add_co_u32 v14, vcc_lo, v14, 1
	v_add_co_ci_u32_e32 v15, vcc_lo, 0, v15, vcc_lo
	s_waitcnt vmcnt(0) lgkmcnt(0)
	v_and_b32_e32 v16, 0xffff, v9
	s_delay_alu instid0(VALU_DEP_1) | instskip(SKIP_3) | instid1(VALU_DEP_2)
	v_lshlrev_b64 v[16:17], s4, v[16:17]
	s_add_u32 s4, s4, 8
	s_addc_u32 s5, s5, 0
	v_cmp_eq_u32_e64 s0, s4, v13
	v_or_b32_e32 v3, v17, v3
	s_delay_alu instid0(VALU_DEP_3) | instskip(NEXT) | instid1(VALU_DEP_3)
	v_or_b32_e32 v2, v16, v2
	s_or_b32 s7, s0, s7
	s_delay_alu instid0(SALU_CYCLE_1)
	s_and_not1_b32 exec_lo, exec_lo, s7
	s_cbranch_execnz .LBB0_6
; %bb.7:                                ;   in Loop: Header=BB0_3 Depth=1
	s_or_b32 exec_lo, exec_lo, s7
.LBB0_8:                                ;   in Loop: Header=BB0_3 Depth=1
	s_delay_alu instid0(SALU_CYCLE_1)
	s_or_b32 exec_lo, exec_lo, s6
	s_mov_b32 s4, 0
.LBB0_9:                                ;   in Loop: Header=BB0_3 Depth=1
	s_or_saveexec_b32 s0, s1
	v_dual_mov_b32 v9, s4 :: v_dual_mov_b32 v26, v8
	v_mov_b32_e32 v25, v7
	s_xor_b32 exec_lo, exec_lo, s0
	s_cbranch_execz .LBB0_11
; %bb.10:                               ;   in Loop: Header=BB0_3 Depth=1
	s_waitcnt vmcnt(0)
	flat_load_b64 v[2:3], v[7:8]
	v_add_co_u32 v25, vcc_lo, v7, 8
	v_add_co_ci_u32_e32 v26, vcc_lo, 0, v8, vcc_lo
	s_waitcnt vmcnt(0) lgkmcnt(0)
	v_and_b32_e32 v9, 0xff, v3
	v_and_b32_e32 v13, 0xff00, v3
	;; [unrolled: 1-line block ×4, first 2 shown]
	v_or3_b32 v2, v2, 0, 0
	s_delay_alu instid0(VALU_DEP_4) | instskip(SKIP_1) | instid1(VALU_DEP_2)
	v_or_b32_e32 v13, v9, v13
	v_add_nc_u32_e32 v9, -8, v29
	v_or3_b32 v3, v13, v14, v3
.LBB0_11:                               ;   in Loop: Header=BB0_3 Depth=1
	s_or_b32 exec_lo, exec_lo, s0
                                        ; implicit-def: $vgpr13_vgpr14
                                        ; implicit-def: $sgpr1
	s_delay_alu instid0(SALU_CYCLE_1) | instskip(NEXT) | instid1(VALU_DEP_2)
	s_mov_b32 s0, exec_lo
	v_cmpx_gt_u32_e32 8, v9
	s_xor_b32 s6, exec_lo, s0
	s_cbranch_execz .LBB0_17
; %bb.12:                               ;   in Loop: Header=BB0_3 Depth=1
	v_mov_b32_e32 v13, 0
	v_mov_b32_e32 v14, 0
	s_mov_b32 s7, exec_lo
	v_cmpx_ne_u32_e32 0, v9
	s_cbranch_execz .LBB0_16
; %bb.13:                               ;   in Loop: Header=BB0_3 Depth=1
	v_mov_b32_e32 v13, 0
	v_mov_b32_e32 v14, 0
	s_mov_b64 s[0:1], 0
	s_mov_b32 s13, 0
	s_mov_b64 s[4:5], 0
	.p2align	6
.LBB0_14:                               ;   Parent Loop BB0_3 Depth=1
                                        ; =>  This Inner Loop Header: Depth=2
	s_delay_alu instid0(SALU_CYCLE_1)
	v_add_co_u32 v15, vcc_lo, v25, s4
	v_add_co_ci_u32_e32 v16, vcc_lo, s5, v26, vcc_lo
	s_add_u32 s4, s4, 1
	s_addc_u32 s5, s5, 0
	v_cmp_eq_u32_e32 vcc_lo, s4, v9
	flat_load_u8 v15, v[15:16]
	s_waitcnt vmcnt(0) lgkmcnt(0)
	v_dual_mov_b32 v16, s11 :: v_dual_and_b32 v15, 0xffff, v15
	s_delay_alu instid0(VALU_DEP_1) | instskip(SKIP_3) | instid1(VALU_DEP_1)
	v_lshlrev_b64 v[15:16], s0, v[15:16]
	s_add_u32 s0, s0, 8
	s_addc_u32 s1, s1, 0
	s_or_b32 s13, vcc_lo, s13
	v_or_b32_e32 v14, v16, v14
	s_delay_alu instid0(VALU_DEP_2)
	v_or_b32_e32 v13, v15, v13
	s_and_not1_b32 exec_lo, exec_lo, s13
	s_cbranch_execnz .LBB0_14
; %bb.15:                               ;   in Loop: Header=BB0_3 Depth=1
	s_or_b32 exec_lo, exec_lo, s13
.LBB0_16:                               ;   in Loop: Header=BB0_3 Depth=1
	s_delay_alu instid0(SALU_CYCLE_1)
	s_or_b32 exec_lo, exec_lo, s7
	s_mov_b32 s1, 0
                                        ; implicit-def: $vgpr9
.LBB0_17:                               ;   in Loop: Header=BB0_3 Depth=1
	s_or_saveexec_b32 s0, s6
	v_mov_b32_e32 v17, s1
	s_xor_b32 exec_lo, exec_lo, s0
	s_cbranch_execz .LBB0_19
; %bb.18:                               ;   in Loop: Header=BB0_3 Depth=1
	flat_load_b64 v[13:14], v[25:26]
	v_add_co_u32 v25, vcc_lo, v25, 8
	v_add_nc_u32_e32 v17, -8, v9
	v_add_co_ci_u32_e32 v26, vcc_lo, 0, v26, vcc_lo
	s_waitcnt vmcnt(0) lgkmcnt(0)
	v_and_b32_e32 v15, 0xff, v14
	v_and_b32_e32 v16, 0xff00, v14
	;; [unrolled: 1-line block ×4, first 2 shown]
	v_or3_b32 v13, v13, 0, 0
	s_delay_alu instid0(VALU_DEP_4) | instskip(NEXT) | instid1(VALU_DEP_1)
	v_or_b32_e32 v15, v15, v16
	v_or3_b32 v14, v15, v18, v14
.LBB0_19:                               ;   in Loop: Header=BB0_3 Depth=1
	s_or_b32 exec_lo, exec_lo, s0
                                        ; implicit-def: $sgpr1
	s_delay_alu instid0(SALU_CYCLE_1)
	s_mov_b32 s0, exec_lo
	v_cmpx_gt_u32_e32 8, v17
	s_xor_b32 s6, exec_lo, s0
	s_cbranch_execz .LBB0_25
; %bb.20:                               ;   in Loop: Header=BB0_3 Depth=1
	v_mov_b32_e32 v15, 0
	v_mov_b32_e32 v16, 0
	s_mov_b32 s7, exec_lo
	v_cmpx_ne_u32_e32 0, v17
	s_cbranch_execz .LBB0_24
; %bb.21:                               ;   in Loop: Header=BB0_3 Depth=1
	v_mov_b32_e32 v15, 0
	v_mov_b32_e32 v16, 0
	s_mov_b64 s[0:1], 0
	s_mov_b32 s13, 0
	s_mov_b64 s[4:5], 0
	.p2align	6
.LBB0_22:                               ;   Parent Loop BB0_3 Depth=1
                                        ; =>  This Inner Loop Header: Depth=2
	s_delay_alu instid0(SALU_CYCLE_1)
	v_add_co_u32 v18, vcc_lo, v25, s4
	v_add_co_ci_u32_e32 v19, vcc_lo, s5, v26, vcc_lo
	s_add_u32 s4, s4, 1
	s_addc_u32 s5, s5, 0
	v_cmp_eq_u32_e32 vcc_lo, s4, v17
	flat_load_u8 v9, v[18:19]
	s_waitcnt vmcnt(0) lgkmcnt(0)
	v_dual_mov_b32 v19, s11 :: v_dual_and_b32 v18, 0xffff, v9
	s_delay_alu instid0(VALU_DEP_1) | instskip(SKIP_3) | instid1(VALU_DEP_1)
	v_lshlrev_b64 v[18:19], s0, v[18:19]
	s_add_u32 s0, s0, 8
	s_addc_u32 s1, s1, 0
	s_or_b32 s13, vcc_lo, s13
	v_or_b32_e32 v16, v19, v16
	s_delay_alu instid0(VALU_DEP_2)
	v_or_b32_e32 v15, v18, v15
	s_and_not1_b32 exec_lo, exec_lo, s13
	s_cbranch_execnz .LBB0_22
; %bb.23:                               ;   in Loop: Header=BB0_3 Depth=1
	s_or_b32 exec_lo, exec_lo, s13
.LBB0_24:                               ;   in Loop: Header=BB0_3 Depth=1
	s_delay_alu instid0(SALU_CYCLE_1)
	s_or_b32 exec_lo, exec_lo, s7
	s_mov_b32 s1, 0
                                        ; implicit-def: $vgpr17
.LBB0_25:                               ;   in Loop: Header=BB0_3 Depth=1
	s_or_saveexec_b32 s0, s6
	v_mov_b32_e32 v9, s1
	s_xor_b32 exec_lo, exec_lo, s0
	s_cbranch_execz .LBB0_27
; %bb.26:                               ;   in Loop: Header=BB0_3 Depth=1
	flat_load_b64 v[15:16], v[25:26]
	v_add_co_u32 v25, vcc_lo, v25, 8
	v_add_co_ci_u32_e32 v26, vcc_lo, 0, v26, vcc_lo
	s_waitcnt vmcnt(0) lgkmcnt(0)
	v_and_b32_e32 v9, 0xff, v16
	v_and_b32_e32 v18, 0xff00, v16
	;; [unrolled: 1-line block ×4, first 2 shown]
	v_or3_b32 v15, v15, 0, 0
	s_delay_alu instid0(VALU_DEP_4) | instskip(SKIP_1) | instid1(VALU_DEP_2)
	v_or_b32_e32 v18, v9, v18
	v_add_nc_u32_e32 v9, -8, v17
	v_or3_b32 v16, v18, v19, v16
.LBB0_27:                               ;   in Loop: Header=BB0_3 Depth=1
	s_or_b32 exec_lo, exec_lo, s0
                                        ; implicit-def: $vgpr17_vgpr18
                                        ; implicit-def: $sgpr1
	s_delay_alu instid0(SALU_CYCLE_1) | instskip(NEXT) | instid1(VALU_DEP_1)
	s_mov_b32 s0, exec_lo
	v_cmpx_gt_u32_e32 8, v9
	s_xor_b32 s6, exec_lo, s0
	s_cbranch_execz .LBB0_33
; %bb.28:                               ;   in Loop: Header=BB0_3 Depth=1
	v_mov_b32_e32 v17, 0
	v_mov_b32_e32 v18, 0
	s_mov_b32 s7, exec_lo
	v_cmpx_ne_u32_e32 0, v9
	s_cbranch_execz .LBB0_32
; %bb.29:                               ;   in Loop: Header=BB0_3 Depth=1
	v_mov_b32_e32 v17, 0
	v_mov_b32_e32 v18, 0
	s_mov_b64 s[0:1], 0
	s_mov_b32 s13, 0
	s_mov_b64 s[4:5], 0
	.p2align	6
.LBB0_30:                               ;   Parent Loop BB0_3 Depth=1
                                        ; =>  This Inner Loop Header: Depth=2
	s_delay_alu instid0(SALU_CYCLE_1)
	v_add_co_u32 v19, vcc_lo, v25, s4
	v_add_co_ci_u32_e32 v20, vcc_lo, s5, v26, vcc_lo
	s_add_u32 s4, s4, 1
	s_addc_u32 s5, s5, 0
	v_cmp_eq_u32_e32 vcc_lo, s4, v9
	flat_load_u8 v19, v[19:20]
	s_waitcnt vmcnt(0) lgkmcnt(0)
	v_dual_mov_b32 v20, s11 :: v_dual_and_b32 v19, 0xffff, v19
	s_delay_alu instid0(VALU_DEP_1) | instskip(SKIP_3) | instid1(VALU_DEP_1)
	v_lshlrev_b64 v[19:20], s0, v[19:20]
	s_add_u32 s0, s0, 8
	s_addc_u32 s1, s1, 0
	s_or_b32 s13, vcc_lo, s13
	v_or_b32_e32 v18, v20, v18
	s_delay_alu instid0(VALU_DEP_2)
	v_or_b32_e32 v17, v19, v17
	s_and_not1_b32 exec_lo, exec_lo, s13
	s_cbranch_execnz .LBB0_30
; %bb.31:                               ;   in Loop: Header=BB0_3 Depth=1
	s_or_b32 exec_lo, exec_lo, s13
.LBB0_32:                               ;   in Loop: Header=BB0_3 Depth=1
	s_delay_alu instid0(SALU_CYCLE_1)
	s_or_b32 exec_lo, exec_lo, s7
	s_mov_b32 s1, 0
                                        ; implicit-def: $vgpr9
.LBB0_33:                               ;   in Loop: Header=BB0_3 Depth=1
	s_or_saveexec_b32 s0, s6
	v_mov_b32_e32 v21, s1
	s_xor_b32 exec_lo, exec_lo, s0
	s_cbranch_execz .LBB0_35
; %bb.34:                               ;   in Loop: Header=BB0_3 Depth=1
	flat_load_b64 v[17:18], v[25:26]
	v_add_co_u32 v25, vcc_lo, v25, 8
	v_add_nc_u32_e32 v21, -8, v9
	v_add_co_ci_u32_e32 v26, vcc_lo, 0, v26, vcc_lo
	s_waitcnt vmcnt(0) lgkmcnt(0)
	v_and_b32_e32 v19, 0xff, v18
	v_and_b32_e32 v20, 0xff00, v18
	;; [unrolled: 1-line block ×4, first 2 shown]
	v_or3_b32 v17, v17, 0, 0
	s_delay_alu instid0(VALU_DEP_4) | instskip(NEXT) | instid1(VALU_DEP_1)
	v_or_b32_e32 v19, v19, v20
	v_or3_b32 v18, v19, v22, v18
.LBB0_35:                               ;   in Loop: Header=BB0_3 Depth=1
	s_or_b32 exec_lo, exec_lo, s0
                                        ; implicit-def: $sgpr1
	s_delay_alu instid0(SALU_CYCLE_1)
	s_mov_b32 s0, exec_lo
	v_cmpx_gt_u32_e32 8, v21
	s_xor_b32 s6, exec_lo, s0
	s_cbranch_execz .LBB0_41
; %bb.36:                               ;   in Loop: Header=BB0_3 Depth=1
	v_mov_b32_e32 v19, 0
	v_mov_b32_e32 v20, 0
	s_mov_b32 s7, exec_lo
	v_cmpx_ne_u32_e32 0, v21
	s_cbranch_execz .LBB0_40
; %bb.37:                               ;   in Loop: Header=BB0_3 Depth=1
	v_mov_b32_e32 v19, 0
	v_mov_b32_e32 v20, 0
	s_mov_b64 s[0:1], 0
	s_mov_b32 s13, 0
	s_mov_b64 s[4:5], 0
	.p2align	6
.LBB0_38:                               ;   Parent Loop BB0_3 Depth=1
                                        ; =>  This Inner Loop Header: Depth=2
	s_delay_alu instid0(SALU_CYCLE_1)
	v_add_co_u32 v22, vcc_lo, v25, s4
	v_add_co_ci_u32_e32 v23, vcc_lo, s5, v26, vcc_lo
	s_add_u32 s4, s4, 1
	s_addc_u32 s5, s5, 0
	v_cmp_eq_u32_e32 vcc_lo, s4, v21
	flat_load_u8 v9, v[22:23]
	s_waitcnt vmcnt(0) lgkmcnt(0)
	v_dual_mov_b32 v23, s11 :: v_dual_and_b32 v22, 0xffff, v9
	s_delay_alu instid0(VALU_DEP_1) | instskip(SKIP_3) | instid1(VALU_DEP_1)
	v_lshlrev_b64 v[22:23], s0, v[22:23]
	s_add_u32 s0, s0, 8
	s_addc_u32 s1, s1, 0
	s_or_b32 s13, vcc_lo, s13
	v_or_b32_e32 v20, v23, v20
	s_delay_alu instid0(VALU_DEP_2)
	v_or_b32_e32 v19, v22, v19
	s_and_not1_b32 exec_lo, exec_lo, s13
	s_cbranch_execnz .LBB0_38
; %bb.39:                               ;   in Loop: Header=BB0_3 Depth=1
	s_or_b32 exec_lo, exec_lo, s13
.LBB0_40:                               ;   in Loop: Header=BB0_3 Depth=1
	s_delay_alu instid0(SALU_CYCLE_1)
	s_or_b32 exec_lo, exec_lo, s7
	s_mov_b32 s1, 0
                                        ; implicit-def: $vgpr21
.LBB0_41:                               ;   in Loop: Header=BB0_3 Depth=1
	s_or_saveexec_b32 s0, s6
	v_mov_b32_e32 v9, s1
	s_xor_b32 exec_lo, exec_lo, s0
	s_cbranch_execz .LBB0_43
; %bb.42:                               ;   in Loop: Header=BB0_3 Depth=1
	flat_load_b64 v[19:20], v[25:26]
	v_add_co_u32 v25, vcc_lo, v25, 8
	v_add_co_ci_u32_e32 v26, vcc_lo, 0, v26, vcc_lo
	s_waitcnt vmcnt(0) lgkmcnt(0)
	v_and_b32_e32 v9, 0xff, v20
	v_and_b32_e32 v22, 0xff00, v20
	;; [unrolled: 1-line block ×4, first 2 shown]
	v_or3_b32 v19, v19, 0, 0
	s_delay_alu instid0(VALU_DEP_4) | instskip(SKIP_1) | instid1(VALU_DEP_2)
	v_or_b32_e32 v22, v9, v22
	v_add_nc_u32_e32 v9, -8, v21
	v_or3_b32 v20, v22, v23, v20
.LBB0_43:                               ;   in Loop: Header=BB0_3 Depth=1
	s_or_b32 exec_lo, exec_lo, s0
                                        ; implicit-def: $vgpr21_vgpr22
                                        ; implicit-def: $sgpr1
	s_delay_alu instid0(SALU_CYCLE_1) | instskip(NEXT) | instid1(VALU_DEP_1)
	s_mov_b32 s0, exec_lo
	v_cmpx_gt_u32_e32 8, v9
	s_xor_b32 s6, exec_lo, s0
	s_cbranch_execz .LBB0_49
; %bb.44:                               ;   in Loop: Header=BB0_3 Depth=1
	v_mov_b32_e32 v21, 0
	v_mov_b32_e32 v22, 0
	s_mov_b32 s7, exec_lo
	v_cmpx_ne_u32_e32 0, v9
	s_cbranch_execz .LBB0_48
; %bb.45:                               ;   in Loop: Header=BB0_3 Depth=1
	v_mov_b32_e32 v21, 0
	v_mov_b32_e32 v22, 0
	s_mov_b64 s[0:1], 0
	s_mov_b32 s13, 0
	s_mov_b64 s[4:5], 0
	.p2align	6
.LBB0_46:                               ;   Parent Loop BB0_3 Depth=1
                                        ; =>  This Inner Loop Header: Depth=2
	s_delay_alu instid0(SALU_CYCLE_1)
	v_add_co_u32 v23, vcc_lo, v25, s4
	v_add_co_ci_u32_e32 v24, vcc_lo, s5, v26, vcc_lo
	s_add_u32 s4, s4, 1
	s_addc_u32 s5, s5, 0
	v_cmp_eq_u32_e32 vcc_lo, s4, v9
	flat_load_u8 v23, v[23:24]
	s_waitcnt vmcnt(0) lgkmcnt(0)
	v_dual_mov_b32 v24, s11 :: v_dual_and_b32 v23, 0xffff, v23
	s_delay_alu instid0(VALU_DEP_1) | instskip(SKIP_3) | instid1(VALU_DEP_1)
	v_lshlrev_b64 v[23:24], s0, v[23:24]
	s_add_u32 s0, s0, 8
	s_addc_u32 s1, s1, 0
	s_or_b32 s13, vcc_lo, s13
	v_or_b32_e32 v22, v24, v22
	s_delay_alu instid0(VALU_DEP_2)
	v_or_b32_e32 v21, v23, v21
	s_and_not1_b32 exec_lo, exec_lo, s13
	s_cbranch_execnz .LBB0_46
; %bb.47:                               ;   in Loop: Header=BB0_3 Depth=1
	s_or_b32 exec_lo, exec_lo, s13
.LBB0_48:                               ;   in Loop: Header=BB0_3 Depth=1
	s_delay_alu instid0(SALU_CYCLE_1)
	s_or_b32 exec_lo, exec_lo, s7
	s_mov_b32 s1, 0
                                        ; implicit-def: $vgpr9
.LBB0_49:                               ;   in Loop: Header=BB0_3 Depth=1
	s_or_saveexec_b32 s0, s6
	v_mov_b32_e32 v27, s1
	s_xor_b32 exec_lo, exec_lo, s0
	s_cbranch_execz .LBB0_51
; %bb.50:                               ;   in Loop: Header=BB0_3 Depth=1
	flat_load_b64 v[21:22], v[25:26]
	v_add_co_u32 v25, vcc_lo, v25, 8
	v_add_nc_u32_e32 v27, -8, v9
	v_add_co_ci_u32_e32 v26, vcc_lo, 0, v26, vcc_lo
	s_waitcnt vmcnt(0) lgkmcnt(0)
	v_and_b32_e32 v23, 0xff, v22
	v_and_b32_e32 v24, 0xff00, v22
	;; [unrolled: 1-line block ×4, first 2 shown]
	v_or3_b32 v21, v21, 0, 0
	s_delay_alu instid0(VALU_DEP_4) | instskip(NEXT) | instid1(VALU_DEP_1)
	v_or_b32_e32 v23, v23, v24
	v_or3_b32 v22, v23, v28, v22
.LBB0_51:                               ;   in Loop: Header=BB0_3 Depth=1
	s_or_b32 exec_lo, exec_lo, s0
	s_delay_alu instid0(SALU_CYCLE_1)
	s_mov_b32 s0, exec_lo
	v_cmpx_gt_u32_e32 8, v27
	s_xor_b32 s4, exec_lo, s0
	s_cbranch_execz .LBB0_57
; %bb.52:                               ;   in Loop: Header=BB0_3 Depth=1
	v_mov_b32_e32 v23, 0
	v_mov_b32_e32 v24, 0
	s_mov_b32 s5, exec_lo
	v_cmpx_ne_u32_e32 0, v27
	s_cbranch_execz .LBB0_56
; %bb.53:                               ;   in Loop: Header=BB0_3 Depth=1
	v_mov_b32_e32 v23, 0
	v_mov_b32_e32 v24, 0
	s_mov_b64 s[0:1], 0
	s_mov_b32 s6, 0
	.p2align	6
.LBB0_54:                               ;   Parent Loop BB0_3 Depth=1
                                        ; =>  This Inner Loop Header: Depth=2
	flat_load_u8 v9, v[25:26]
	v_dual_mov_b32 v32, s11 :: v_dual_add_nc_u32 v27, -1, v27
	v_add_co_u32 v25, vcc_lo, v25, 1
	v_add_co_ci_u32_e32 v26, vcc_lo, 0, v26, vcc_lo
	s_delay_alu instid0(VALU_DEP_3) | instskip(SKIP_2) | instid1(VALU_DEP_1)
	v_cmp_eq_u32_e32 vcc_lo, 0, v27
	s_waitcnt vmcnt(0) lgkmcnt(0)
	v_and_b32_e32 v31, 0xffff, v9
	v_lshlrev_b64 v[31:32], s0, v[31:32]
	s_add_u32 s0, s0, 8
	s_addc_u32 s1, s1, 0
	s_or_b32 s6, vcc_lo, s6
	s_delay_alu instid0(VALU_DEP_1) | instskip(NEXT) | instid1(VALU_DEP_2)
	v_or_b32_e32 v24, v32, v24
	v_or_b32_e32 v23, v31, v23
	s_and_not1_b32 exec_lo, exec_lo, s6
	s_cbranch_execnz .LBB0_54
; %bb.55:                               ;   in Loop: Header=BB0_3 Depth=1
	s_or_b32 exec_lo, exec_lo, s6
.LBB0_56:                               ;   in Loop: Header=BB0_3 Depth=1
	s_delay_alu instid0(SALU_CYCLE_1)
	s_or_b32 exec_lo, exec_lo, s5
                                        ; implicit-def: $vgpr25_vgpr26
.LBB0_57:                               ;   in Loop: Header=BB0_3 Depth=1
	s_and_not1_saveexec_b32 s0, s4
	s_cbranch_execz .LBB0_59
; %bb.58:                               ;   in Loop: Header=BB0_3 Depth=1
	flat_load_b64 v[23:24], v[25:26]
	s_waitcnt vmcnt(0) lgkmcnt(0)
	v_and_b32_e32 v9, 0xff, v24
	v_and_b32_e32 v25, 0xff00, v24
	;; [unrolled: 1-line block ×4, first 2 shown]
	v_or3_b32 v23, v23, 0, 0
	s_delay_alu instid0(VALU_DEP_4) | instskip(NEXT) | instid1(VALU_DEP_1)
	v_or_b32_e32 v9, v9, v25
	v_or3_b32 v24, v9, v26, v24
.LBB0_59:                               ;   in Loop: Header=BB0_3 Depth=1
	s_or_b32 exec_lo, exec_lo, s0
	v_readfirstlane_b32 s0, v33
	v_mov_b32_e32 v31, 0
	v_mov_b32_e32 v32, 0
	s_delay_alu instid0(VALU_DEP_3) | instskip(NEXT) | instid1(VALU_DEP_1)
	v_cmp_eq_u32_e64 s0, s0, v33
	s_and_saveexec_b32 s1, s0
	s_cbranch_execz .LBB0_65
; %bb.60:                               ;   in Loop: Header=BB0_3 Depth=1
	s_waitcnt lgkmcnt(0)
	global_load_b64 v[27:28], v10, s[2:3] offset:24 glc
	s_waitcnt vmcnt(0)
	buffer_gl1_inv
	buffer_gl0_inv
	s_clause 0x1
	global_load_b64 v[25:26], v10, s[2:3] offset:40
	global_load_b64 v[31:32], v10, s[2:3]
	s_mov_b32 s4, exec_lo
	s_waitcnt vmcnt(1)
	v_and_b32_e32 v9, v26, v28
	v_and_b32_e32 v25, v25, v27
	s_delay_alu instid0(VALU_DEP_2) | instskip(NEXT) | instid1(VALU_DEP_2)
	v_mul_lo_u32 v9, v9, 24
	v_mul_hi_u32 v26, v25, 24
	v_mul_lo_u32 v25, v25, 24
	s_delay_alu instid0(VALU_DEP_2) | instskip(SKIP_1) | instid1(VALU_DEP_2)
	v_add_nc_u32_e32 v9, v26, v9
	s_waitcnt vmcnt(0)
	v_add_co_u32 v25, vcc_lo, v31, v25
	s_delay_alu instid0(VALU_DEP_2)
	v_add_co_ci_u32_e32 v26, vcc_lo, v32, v9, vcc_lo
	global_load_b64 v[25:26], v[25:26], off glc
	s_waitcnt vmcnt(0)
	global_atomic_cmpswap_b64 v[31:32], v10, v[25:28], s[2:3] offset:24 glc
	s_waitcnt vmcnt(0)
	buffer_gl1_inv
	buffer_gl0_inv
	v_cmpx_ne_u64_e64 v[31:32], v[27:28]
	s_cbranch_execz .LBB0_64
; %bb.61:                               ;   in Loop: Header=BB0_3 Depth=1
	s_mov_b32 s5, 0
	.p2align	6
.LBB0_62:                               ;   Parent Loop BB0_3 Depth=1
                                        ; =>  This Inner Loop Header: Depth=2
	s_sleep 1
	s_clause 0x1
	global_load_b64 v[25:26], v10, s[2:3] offset:40
	global_load_b64 v[34:35], v10, s[2:3]
	v_dual_mov_b32 v27, v31 :: v_dual_mov_b32 v28, v32
	s_waitcnt vmcnt(1)
	s_delay_alu instid0(VALU_DEP_1) | instskip(SKIP_1) | instid1(VALU_DEP_1)
	v_and_b32_e32 v9, v25, v27
	s_waitcnt vmcnt(0)
	v_mad_u64_u32 v[31:32], null, v9, 24, v[34:35]
	s_delay_alu instid0(VALU_DEP_1) | instskip(NEXT) | instid1(VALU_DEP_1)
	v_dual_mov_b32 v9, v32 :: v_dual_and_b32 v34, v26, v28
	v_mad_u64_u32 v[25:26], null, v34, 24, v[9:10]
	s_delay_alu instid0(VALU_DEP_1)
	v_mov_b32_e32 v32, v25
	global_load_b64 v[25:26], v[31:32], off glc
	s_waitcnt vmcnt(0)
	global_atomic_cmpswap_b64 v[31:32], v10, v[25:28], s[2:3] offset:24 glc
	s_waitcnt vmcnt(0)
	buffer_gl1_inv
	buffer_gl0_inv
	v_cmp_eq_u64_e32 vcc_lo, v[31:32], v[27:28]
	s_or_b32 s5, vcc_lo, s5
	s_delay_alu instid0(SALU_CYCLE_1)
	s_and_not1_b32 exec_lo, exec_lo, s5
	s_cbranch_execnz .LBB0_62
; %bb.63:                               ;   in Loop: Header=BB0_3 Depth=1
	s_or_b32 exec_lo, exec_lo, s5
.LBB0_64:                               ;   in Loop: Header=BB0_3 Depth=1
	s_delay_alu instid0(SALU_CYCLE_1)
	s_or_b32 exec_lo, exec_lo, s4
.LBB0_65:                               ;   in Loop: Header=BB0_3 Depth=1
	s_delay_alu instid0(SALU_CYCLE_1)
	s_or_b32 exec_lo, exec_lo, s1
	s_waitcnt lgkmcnt(0)
	s_clause 0x1
	global_load_b64 v[34:35], v10, s[2:3] offset:40
	global_load_b128 v[25:28], v10, s[2:3]
	v_readfirstlane_b32 s4, v31
	v_readfirstlane_b32 s5, v32
	s_mov_b32 s1, exec_lo
	s_waitcnt vmcnt(1)
	v_readfirstlane_b32 s6, v34
	v_readfirstlane_b32 s7, v35
	s_delay_alu instid0(VALU_DEP_1) | instskip(NEXT) | instid1(SALU_CYCLE_1)
	s_and_b64 s[6:7], s[4:5], s[6:7]
	s_mul_i32 s13, s7, 24
	s_mul_hi_u32 s14, s6, 24
	s_mul_i32 s15, s6, 24
	s_add_i32 s14, s14, s13
	s_waitcnt vmcnt(0)
	v_add_co_u32 v31, vcc_lo, v25, s15
	v_add_co_ci_u32_e32 v32, vcc_lo, s14, v26, vcc_lo
	s_and_saveexec_b32 s13, s0
	s_cbranch_execz .LBB0_67
; %bb.66:                               ;   in Loop: Header=BB0_3 Depth=1
	v_mov_b32_e32 v9, s1
	global_store_b128 v[31:32], v[9:12], off offset:8
.LBB0_67:                               ;   in Loop: Header=BB0_3 Depth=1
	s_or_b32 exec_lo, exec_lo, s13
	v_cmp_lt_u64_e32 vcc_lo, 56, v[4:5]
	v_or_b32_e32 v9, 0, v1
	v_or_b32_e32 v34, v0, v6
	v_lshl_add_u32 v35, v29, 2, 28
	s_lshl_b64 s[6:7], s[6:7], 12
	s_delay_alu instid0(SALU_CYCLE_1) | instskip(NEXT) | instid1(VALU_DEP_1)
	v_add_co_u32 v27, s1, v27, s6
	v_add_co_ci_u32_e64 v28, s1, s7, v28, s1
	v_dual_cndmask_b32 v1, v9, v1 :: v_dual_cndmask_b32 v0, v34, v0
	v_and_b32_e32 v9, 0x1e0, v35
	v_lshlrev_b32_e32 v34, 6, v33
	v_readfirstlane_b32 s6, v27
	v_readfirstlane_b32 s7, v28
	s_delay_alu instid0(VALU_DEP_4)
	v_and_or_b32 v0, 0xffffff1f, v0, v9
	s_clause 0x3
	global_store_b128 v34, v[0:3], s[6:7]
	global_store_b128 v34, v[13:16], s[6:7] offset:16
	global_store_b128 v34, v[17:20], s[6:7] offset:32
	;; [unrolled: 1-line block ×3, first 2 shown]
	s_and_saveexec_b32 s1, s0
	s_cbranch_execz .LBB0_75
; %bb.68:                               ;   in Loop: Header=BB0_3 Depth=1
	s_clause 0x1
	global_load_b64 v[17:18], v10, s[2:3] offset:32 glc
	global_load_b64 v[0:1], v10, s[2:3] offset:40
	v_dual_mov_b32 v15, s4 :: v_dual_mov_b32 v16, s5
	s_waitcnt vmcnt(0)
	v_readfirstlane_b32 s6, v0
	v_readfirstlane_b32 s7, v1
	s_delay_alu instid0(VALU_DEP_1) | instskip(NEXT) | instid1(SALU_CYCLE_1)
	s_and_b64 s[6:7], s[6:7], s[4:5]
	s_mul_i32 s7, s7, 24
	s_mul_hi_u32 s13, s6, 24
	s_mul_i32 s6, s6, 24
	s_add_i32 s13, s13, s7
	v_add_co_u32 v13, vcc_lo, v25, s6
	v_add_co_ci_u32_e32 v14, vcc_lo, s13, v26, vcc_lo
	s_mov_b32 s6, exec_lo
	global_store_b64 v[13:14], v[17:18], off
	s_waitcnt_vscnt null, 0x0
	global_atomic_cmpswap_b64 v[2:3], v10, v[15:18], s[2:3] offset:32 glc
	s_waitcnt vmcnt(0)
	v_cmpx_ne_u64_e64 v[2:3], v[17:18]
	s_cbranch_execz .LBB0_71
; %bb.69:                               ;   in Loop: Header=BB0_3 Depth=1
	s_mov_b32 s7, 0
.LBB0_70:                               ;   Parent Loop BB0_3 Depth=1
                                        ; =>  This Inner Loop Header: Depth=2
	v_dual_mov_b32 v0, s4 :: v_dual_mov_b32 v1, s5
	s_sleep 1
	global_store_b64 v[13:14], v[2:3], off
	s_waitcnt_vscnt null, 0x0
	global_atomic_cmpswap_b64 v[0:1], v10, v[0:3], s[2:3] offset:32 glc
	s_waitcnt vmcnt(0)
	v_cmp_eq_u64_e32 vcc_lo, v[0:1], v[2:3]
	v_dual_mov_b32 v3, v1 :: v_dual_mov_b32 v2, v0
	s_or_b32 s7, vcc_lo, s7
	s_delay_alu instid0(SALU_CYCLE_1)
	s_and_not1_b32 exec_lo, exec_lo, s7
	s_cbranch_execnz .LBB0_70
.LBB0_71:                               ;   in Loop: Header=BB0_3 Depth=1
	s_or_b32 exec_lo, exec_lo, s6
	global_load_b64 v[0:1], v10, s[2:3] offset:16
	s_mov_b32 s7, exec_lo
	s_mov_b32 s6, exec_lo
	v_mbcnt_lo_u32_b32 v2, s7, 0
	s_delay_alu instid0(VALU_DEP_1)
	v_cmpx_eq_u32_e32 0, v2
	s_cbranch_execz .LBB0_73
; %bb.72:                               ;   in Loop: Header=BB0_3 Depth=1
	s_bcnt1_i32_b32 s7, s7
	s_delay_alu instid0(SALU_CYCLE_1)
	v_mov_b32_e32 v9, s7
	s_waitcnt vmcnt(0)
	global_atomic_add_u64 v[0:1], v[9:10], off offset:8
.LBB0_73:                               ;   in Loop: Header=BB0_3 Depth=1
	s_or_b32 exec_lo, exec_lo, s6
	s_waitcnt vmcnt(0)
	global_load_b64 v[2:3], v[0:1], off offset:16
	s_waitcnt vmcnt(0)
	v_cmp_eq_u64_e32 vcc_lo, 0, v[2:3]
	s_cbranch_vccnz .LBB0_75
; %bb.74:                               ;   in Loop: Header=BB0_3 Depth=1
	global_load_b32 v9, v[0:1], off offset:24
	s_waitcnt vmcnt(0)
	v_and_b32_e32 v0, 0xffffff, v9
	s_waitcnt_vscnt null, 0x0
	global_store_b64 v[2:3], v[9:10], off
	v_readfirstlane_b32 m0, v0
	s_sendmsg sendmsg(MSG_INTERRUPT)
.LBB0_75:                               ;   in Loop: Header=BB0_3 Depth=1
	s_or_b32 exec_lo, exec_lo, s1
	v_add_co_u32 v0, vcc_lo, v27, v34
	v_add_co_ci_u32_e32 v1, vcc_lo, 0, v28, vcc_lo
	s_branch .LBB0_79
	.p2align	6
.LBB0_76:                               ;   in Loop: Header=BB0_79 Depth=2
	s_or_b32 exec_lo, exec_lo, s1
	s_delay_alu instid0(VALU_DEP_1) | instskip(NEXT) | instid1(VALU_DEP_1)
	v_readfirstlane_b32 s1, v2
	s_cmp_eq_u32 s1, 0
	s_cbranch_scc1 .LBB0_78
; %bb.77:                               ;   in Loop: Header=BB0_79 Depth=2
	s_sleep 1
	s_cbranch_execnz .LBB0_79
	s_branch .LBB0_81
	.p2align	6
.LBB0_78:                               ;   in Loop: Header=BB0_3 Depth=1
	s_branch .LBB0_81
.LBB0_79:                               ;   Parent Loop BB0_3 Depth=1
                                        ; =>  This Inner Loop Header: Depth=2
	v_mov_b32_e32 v2, 1
	s_and_saveexec_b32 s1, s0
	s_cbranch_execz .LBB0_76
; %bb.80:                               ;   in Loop: Header=BB0_79 Depth=2
	global_load_b32 v2, v[31:32], off offset:20 glc
	s_waitcnt vmcnt(0)
	buffer_gl1_inv
	buffer_gl0_inv
	v_and_b32_e32 v2, 1, v2
	s_branch .LBB0_76
.LBB0_81:                               ;   in Loop: Header=BB0_3 Depth=1
	global_load_b128 v[0:3], v[0:1], off
	s_and_saveexec_b32 s1, s0
	s_cbranch_execz .LBB0_2
; %bb.82:                               ;   in Loop: Header=BB0_3 Depth=1
	s_clause 0x2
	global_load_b64 v[2:3], v10, s[2:3] offset:40
	global_load_b64 v[17:18], v10, s[2:3] offset:24 glc
	global_load_b64 v[15:16], v10, s[2:3]
	s_waitcnt vmcnt(2)
	v_add_co_u32 v9, vcc_lo, v2, 1
	v_add_co_ci_u32_e32 v19, vcc_lo, 0, v3, vcc_lo
	s_delay_alu instid0(VALU_DEP_2) | instskip(NEXT) | instid1(VALU_DEP_2)
	v_add_co_u32 v13, vcc_lo, v9, s4
	v_add_co_ci_u32_e32 v14, vcc_lo, s5, v19, vcc_lo
	s_delay_alu instid0(VALU_DEP_1) | instskip(SKIP_1) | instid1(VALU_DEP_1)
	v_cmp_eq_u64_e32 vcc_lo, 0, v[13:14]
	v_dual_cndmask_b32 v14, v14, v19 :: v_dual_cndmask_b32 v13, v13, v9
	v_and_b32_e32 v3, v14, v3
	s_delay_alu instid0(VALU_DEP_2) | instskip(NEXT) | instid1(VALU_DEP_2)
	v_and_b32_e32 v2, v13, v2
	v_mul_lo_u32 v3, v3, 24
	s_delay_alu instid0(VALU_DEP_2) | instskip(SKIP_1) | instid1(VALU_DEP_2)
	v_mul_hi_u32 v9, v2, 24
	v_mul_lo_u32 v2, v2, 24
	v_add_nc_u32_e32 v3, v9, v3
	s_waitcnt vmcnt(0)
	s_delay_alu instid0(VALU_DEP_2) | instskip(SKIP_1) | instid1(VALU_DEP_3)
	v_add_co_u32 v2, vcc_lo, v15, v2
	v_mov_b32_e32 v15, v17
	v_add_co_ci_u32_e32 v3, vcc_lo, v16, v3, vcc_lo
	v_mov_b32_e32 v16, v18
	global_store_b64 v[2:3], v[17:18], off
	s_waitcnt_vscnt null, 0x0
	global_atomic_cmpswap_b64 v[15:16], v10, v[13:16], s[2:3] offset:24 glc
	s_waitcnt vmcnt(0)
	v_cmp_ne_u64_e32 vcc_lo, v[15:16], v[17:18]
	s_and_b32 exec_lo, exec_lo, vcc_lo
	s_cbranch_execz .LBB0_2
; %bb.83:                               ;   in Loop: Header=BB0_3 Depth=1
	s_mov_b32 s0, 0
.LBB0_84:                               ;   Parent Loop BB0_3 Depth=1
                                        ; =>  This Inner Loop Header: Depth=2
	s_sleep 1
	global_store_b64 v[2:3], v[15:16], off
	s_waitcnt_vscnt null, 0x0
	global_atomic_cmpswap_b64 v[17:18], v10, v[13:16], s[2:3] offset:24 glc
	s_waitcnt vmcnt(0)
	v_cmp_eq_u64_e32 vcc_lo, v[17:18], v[15:16]
	v_dual_mov_b32 v15, v17 :: v_dual_mov_b32 v16, v18
	s_or_b32 s0, vcc_lo, s0
	s_delay_alu instid0(SALU_CYCLE_1)
	s_and_not1_b32 exec_lo, exec_lo, s0
	s_cbranch_execnz .LBB0_84
	s_branch .LBB0_2
.LBB0_85:
	s_or_b32 exec_lo, exec_lo, s12
                                        ; implicit-def: $vgpr0
                                        ; implicit-def: $vgpr33
                                        ; implicit-def: $vgpr1
.LBB0_86:
	s_and_not1_saveexec_b32 s1, s10
	s_cbranch_execz .LBB0_108
; %bb.87:
	s_load_b64 s[2:3], s[8:9], 0x50
	v_readfirstlane_b32 s0, v33
	v_mov_b32_e32 v8, 0
	v_mov_b32_e32 v9, 0
	s_delay_alu instid0(VALU_DEP_3) | instskip(NEXT) | instid1(VALU_DEP_1)
	v_cmp_eq_u32_e64 s0, s0, v33
	s_and_saveexec_b32 s4, s0
	s_cbranch_execz .LBB0_93
; %bb.88:
	s_waitcnt vmcnt(0)
	v_mov_b32_e32 v2, 0
	s_mov_b32 s5, exec_lo
	s_waitcnt lgkmcnt(0)
	global_load_b64 v[5:6], v2, s[2:3] offset:24 glc
	s_waitcnt vmcnt(0)
	buffer_gl1_inv
	buffer_gl0_inv
	s_clause 0x1
	global_load_b64 v[3:4], v2, s[2:3] offset:40
	global_load_b64 v[7:8], v2, s[2:3]
	s_waitcnt vmcnt(1)
	v_and_b32_e32 v3, v3, v5
	v_and_b32_e32 v4, v4, v6
	s_delay_alu instid0(VALU_DEP_2) | instskip(NEXT) | instid1(VALU_DEP_2)
	v_mul_hi_u32 v9, v3, 24
	v_mul_lo_u32 v4, v4, 24
	v_mul_lo_u32 v3, v3, 24
	s_delay_alu instid0(VALU_DEP_2) | instskip(SKIP_1) | instid1(VALU_DEP_2)
	v_add_nc_u32_e32 v4, v9, v4
	s_waitcnt vmcnt(0)
	v_add_co_u32 v3, vcc_lo, v7, v3
	s_delay_alu instid0(VALU_DEP_2)
	v_add_co_ci_u32_e32 v4, vcc_lo, v8, v4, vcc_lo
	global_load_b64 v[3:4], v[3:4], off glc
	s_waitcnt vmcnt(0)
	global_atomic_cmpswap_b64 v[8:9], v2, v[3:6], s[2:3] offset:24 glc
	s_waitcnt vmcnt(0)
	buffer_gl1_inv
	buffer_gl0_inv
	v_cmpx_ne_u64_e64 v[8:9], v[5:6]
	s_cbranch_execz .LBB0_92
; %bb.89:
	s_mov_b32 s6, 0
	.p2align	6
.LBB0_90:                               ; =>This Inner Loop Header: Depth=1
	s_sleep 1
	s_clause 0x1
	global_load_b64 v[3:4], v2, s[2:3] offset:40
	global_load_b64 v[10:11], v2, s[2:3]
	v_dual_mov_b32 v5, v8 :: v_dual_mov_b32 v6, v9
	s_waitcnt vmcnt(1)
	s_delay_alu instid0(VALU_DEP_1) | instskip(NEXT) | instid1(VALU_DEP_2)
	v_and_b32_e32 v3, v3, v5
	v_and_b32_e32 v4, v4, v6
	s_waitcnt vmcnt(0)
	s_delay_alu instid0(VALU_DEP_2) | instskip(NEXT) | instid1(VALU_DEP_1)
	v_mad_u64_u32 v[7:8], null, v3, 24, v[10:11]
	v_mov_b32_e32 v3, v8
	s_delay_alu instid0(VALU_DEP_1)
	v_mad_u64_u32 v[8:9], null, v4, 24, v[3:4]
	global_load_b64 v[3:4], v[7:8], off glc
	s_waitcnt vmcnt(0)
	global_atomic_cmpswap_b64 v[8:9], v2, v[3:6], s[2:3] offset:24 glc
	s_waitcnt vmcnt(0)
	buffer_gl1_inv
	buffer_gl0_inv
	v_cmp_eq_u64_e32 vcc_lo, v[8:9], v[5:6]
	s_or_b32 s6, vcc_lo, s6
	s_delay_alu instid0(SALU_CYCLE_1)
	s_and_not1_b32 exec_lo, exec_lo, s6
	s_cbranch_execnz .LBB0_90
; %bb.91:
	s_or_b32 exec_lo, exec_lo, s6
.LBB0_92:
	s_delay_alu instid0(SALU_CYCLE_1)
	s_or_b32 exec_lo, exec_lo, s5
.LBB0_93:
	s_delay_alu instid0(SALU_CYCLE_1)
	s_or_b32 exec_lo, exec_lo, s4
	s_waitcnt vmcnt(0)
	v_mov_b32_e32 v2, 0
	v_readfirstlane_b32 s4, v8
	v_readfirstlane_b32 s5, v9
	s_mov_b32 s8, exec_lo
	s_waitcnt lgkmcnt(0)
	s_clause 0x1
	global_load_b64 v[10:11], v2, s[2:3] offset:40
	global_load_b128 v[4:7], v2, s[2:3]
	s_waitcnt vmcnt(1)
	v_readfirstlane_b32 s6, v10
	v_readfirstlane_b32 s7, v11
	s_delay_alu instid0(VALU_DEP_1) | instskip(NEXT) | instid1(SALU_CYCLE_1)
	s_and_b64 s[6:7], s[4:5], s[6:7]
	s_mul_i32 s9, s7, 24
	s_mul_hi_u32 s10, s6, 24
	s_mul_i32 s11, s6, 24
	s_add_i32 s10, s10, s9
	s_waitcnt vmcnt(0)
	v_add_co_u32 v8, vcc_lo, v4, s11
	v_add_co_ci_u32_e32 v9, vcc_lo, s10, v5, vcc_lo
	s_and_saveexec_b32 s9, s0
	s_cbranch_execz .LBB0_95
; %bb.94:
	v_dual_mov_b32 v10, s8 :: v_dual_mov_b32 v11, v2
	v_dual_mov_b32 v12, 2 :: v_dual_mov_b32 v13, 1
	global_store_b128 v[8:9], v[10:13], off offset:8
.LBB0_95:
	s_or_b32 exec_lo, exec_lo, s9
	s_lshl_b64 s[6:7], s[6:7], 12
	s_mov_b32 s8, 0
	v_add_co_u32 v6, vcc_lo, v6, s6
	v_add_co_ci_u32_e32 v7, vcc_lo, s7, v7, vcc_lo
	s_mov_b32 s11, s8
	s_mov_b32 s9, s8
	;; [unrolled: 1-line block ×3, first 2 shown]
	v_and_or_b32 v0, 0xffffff1f, v0, 32
	v_dual_mov_b32 v3, v2 :: v_dual_lshlrev_b32 v14, 6, v33
	v_readfirstlane_b32 s6, v6
	v_readfirstlane_b32 s7, v7
	v_dual_mov_b32 v13, s11 :: v_dual_mov_b32 v12, s10
	v_dual_mov_b32 v11, s9 :: v_dual_mov_b32 v10, s8
	s_clause 0x3
	global_store_b128 v14, v[0:3], s[6:7]
	global_store_b128 v14, v[10:13], s[6:7] offset:16
	global_store_b128 v14, v[10:13], s[6:7] offset:32
	;; [unrolled: 1-line block ×3, first 2 shown]
	s_and_saveexec_b32 s6, s0
	s_cbranch_execz .LBB0_102
; %bb.96:
	v_mov_b32_e32 v6, 0
	s_mov_b32 s7, exec_lo
	s_clause 0x1
	global_load_b64 v[12:13], v6, s[2:3] offset:32 glc
	global_load_b64 v[0:1], v6, s[2:3] offset:40
	v_dual_mov_b32 v11, s5 :: v_dual_mov_b32 v10, s4
	s_waitcnt vmcnt(0)
	v_and_b32_e32 v1, s5, v1
	v_and_b32_e32 v0, s4, v0
	s_delay_alu instid0(VALU_DEP_2) | instskip(NEXT) | instid1(VALU_DEP_2)
	v_mul_lo_u32 v1, v1, 24
	v_mul_hi_u32 v2, v0, 24
	v_mul_lo_u32 v0, v0, 24
	s_delay_alu instid0(VALU_DEP_2) | instskip(NEXT) | instid1(VALU_DEP_2)
	v_add_nc_u32_e32 v1, v2, v1
	v_add_co_u32 v4, vcc_lo, v4, v0
	s_delay_alu instid0(VALU_DEP_2)
	v_add_co_ci_u32_e32 v5, vcc_lo, v5, v1, vcc_lo
	global_store_b64 v[4:5], v[12:13], off
	s_waitcnt_vscnt null, 0x0
	global_atomic_cmpswap_b64 v[2:3], v6, v[10:13], s[2:3] offset:32 glc
	s_waitcnt vmcnt(0)
	v_cmpx_ne_u64_e64 v[2:3], v[12:13]
	s_cbranch_execz .LBB0_98
.LBB0_97:                               ; =>This Inner Loop Header: Depth=1
	v_dual_mov_b32 v0, s4 :: v_dual_mov_b32 v1, s5
	s_sleep 1
	global_store_b64 v[4:5], v[2:3], off
	s_waitcnt_vscnt null, 0x0
	global_atomic_cmpswap_b64 v[0:1], v6, v[0:3], s[2:3] offset:32 glc
	s_waitcnt vmcnt(0)
	v_cmp_eq_u64_e32 vcc_lo, v[0:1], v[2:3]
	v_dual_mov_b32 v3, v1 :: v_dual_mov_b32 v2, v0
	s_or_b32 s8, vcc_lo, s8
	s_delay_alu instid0(SALU_CYCLE_1)
	s_and_not1_b32 exec_lo, exec_lo, s8
	s_cbranch_execnz .LBB0_97
.LBB0_98:
	s_or_b32 exec_lo, exec_lo, s7
	v_mov_b32_e32 v3, 0
	s_mov_b32 s8, exec_lo
	s_mov_b32 s7, exec_lo
	v_mbcnt_lo_u32_b32 v2, s8, 0
	global_load_b64 v[0:1], v3, s[2:3] offset:16
	v_cmpx_eq_u32_e32 0, v2
	s_cbranch_execz .LBB0_100
; %bb.99:
	s_bcnt1_i32_b32 s8, s8
	s_delay_alu instid0(SALU_CYCLE_1)
	v_mov_b32_e32 v2, s8
	s_waitcnt vmcnt(0)
	global_atomic_add_u64 v[0:1], v[2:3], off offset:8
.LBB0_100:
	s_or_b32 exec_lo, exec_lo, s7
	s_waitcnt vmcnt(0)
	global_load_b64 v[2:3], v[0:1], off offset:16
	s_waitcnt vmcnt(0)
	v_cmp_eq_u64_e32 vcc_lo, 0, v[2:3]
	s_cbranch_vccnz .LBB0_102
; %bb.101:
	global_load_b32 v0, v[0:1], off offset:24
	s_waitcnt vmcnt(0)
	v_dual_mov_b32 v1, 0 :: v_dual_and_b32 v4, 0xffffff, v0
	s_waitcnt_vscnt null, 0x0
	global_store_b64 v[2:3], v[0:1], off
	v_readfirstlane_b32 m0, v4
	s_sendmsg sendmsg(MSG_INTERRUPT)
.LBB0_102:
	s_or_b32 exec_lo, exec_lo, s6
	s_branch .LBB0_106
	.p2align	6
.LBB0_103:                              ;   in Loop: Header=BB0_106 Depth=1
	s_or_b32 exec_lo, exec_lo, s6
	s_delay_alu instid0(VALU_DEP_1) | instskip(NEXT) | instid1(VALU_DEP_1)
	v_readfirstlane_b32 s6, v0
	s_cmp_eq_u32 s6, 0
	s_cbranch_scc1 .LBB0_105
; %bb.104:                              ;   in Loop: Header=BB0_106 Depth=1
	s_sleep 1
	s_cbranch_execnz .LBB0_106
	s_branch .LBB0_109
	.p2align	6
.LBB0_105:
	s_branch .LBB0_109
.LBB0_106:                              ; =>This Inner Loop Header: Depth=1
	v_mov_b32_e32 v0, 1
	s_and_saveexec_b32 s6, s0
	s_cbranch_execz .LBB0_103
; %bb.107:                              ;   in Loop: Header=BB0_106 Depth=1
	global_load_b32 v0, v[8:9], off offset:20 glc
	s_waitcnt vmcnt(0)
	buffer_gl1_inv
	buffer_gl0_inv
	v_and_b32_e32 v0, 1, v0
	s_branch .LBB0_103
.LBB0_108:
	s_or_b32 exec_lo, exec_lo, s1
	s_waitcnt vmcnt(0) lgkmcnt(0)
	s_setpc_b64 s[30:31]
.LBB0_109:
	s_and_saveexec_b32 s6, s0
	s_cbranch_execz .LBB0_113
; %bb.110:
	v_mov_b32_e32 v6, 0
	s_clause 0x2
	global_load_b64 v[2:3], v6, s[2:3] offset:40
	global_load_b64 v[7:8], v6, s[2:3] offset:24 glc
	global_load_b64 v[4:5], v6, s[2:3]
	s_waitcnt vmcnt(2)
	v_add_co_u32 v9, vcc_lo, v2, 1
	v_add_co_ci_u32_e32 v10, vcc_lo, 0, v3, vcc_lo
	s_delay_alu instid0(VALU_DEP_2) | instskip(NEXT) | instid1(VALU_DEP_2)
	v_add_co_u32 v0, vcc_lo, v9, s4
	v_add_co_ci_u32_e32 v1, vcc_lo, s5, v10, vcc_lo
	s_delay_alu instid0(VALU_DEP_1) | instskip(SKIP_1) | instid1(VALU_DEP_1)
	v_cmp_eq_u64_e32 vcc_lo, 0, v[0:1]
	v_dual_cndmask_b32 v1, v1, v10 :: v_dual_cndmask_b32 v0, v0, v9
	v_and_b32_e32 v3, v1, v3
	s_delay_alu instid0(VALU_DEP_2) | instskip(NEXT) | instid1(VALU_DEP_2)
	v_and_b32_e32 v2, v0, v2
	v_mul_lo_u32 v3, v3, 24
	s_delay_alu instid0(VALU_DEP_2) | instskip(SKIP_1) | instid1(VALU_DEP_2)
	v_mul_hi_u32 v9, v2, 24
	v_mul_lo_u32 v2, v2, 24
	v_add_nc_u32_e32 v3, v9, v3
	s_waitcnt vmcnt(0)
	s_delay_alu instid0(VALU_DEP_2) | instskip(SKIP_1) | instid1(VALU_DEP_3)
	v_add_co_u32 v4, vcc_lo, v4, v2
	v_mov_b32_e32 v2, v7
	v_add_co_ci_u32_e32 v5, vcc_lo, v5, v3, vcc_lo
	v_mov_b32_e32 v3, v8
	global_store_b64 v[4:5], v[7:8], off
	s_waitcnt_vscnt null, 0x0
	global_atomic_cmpswap_b64 v[2:3], v6, v[0:3], s[2:3] offset:24 glc
	s_waitcnt vmcnt(0)
	v_cmp_ne_u64_e32 vcc_lo, v[2:3], v[7:8]
	s_and_b32 exec_lo, exec_lo, vcc_lo
	s_cbranch_execz .LBB0_113
; %bb.111:
	s_mov_b32 s0, 0
.LBB0_112:                              ; =>This Inner Loop Header: Depth=1
	s_sleep 1
	global_store_b64 v[4:5], v[2:3], off
	s_waitcnt_vscnt null, 0x0
	global_atomic_cmpswap_b64 v[7:8], v6, v[0:3], s[2:3] offset:24 glc
	s_waitcnt vmcnt(0)
	v_cmp_eq_u64_e32 vcc_lo, v[7:8], v[2:3]
	v_dual_mov_b32 v2, v7 :: v_dual_mov_b32 v3, v8
	s_or_b32 s0, vcc_lo, s0
	s_delay_alu instid0(SALU_CYCLE_1)
	s_and_not1_b32 exec_lo, exec_lo, s0
	s_cbranch_execnz .LBB0_112
.LBB0_113:
	s_or_b32 exec_lo, exec_lo, s6
	s_delay_alu instid0(SALU_CYCLE_1)
	s_or_b32 exec_lo, exec_lo, s1
	s_waitcnt lgkmcnt(0)
	s_setpc_b64 s[30:31]
.Lfunc_end0:
	.size	__ockl_fprintf_append_string_n, .Lfunc_end0-__ockl_fprintf_append_string_n
                                        ; -- End function
	.section	.AMDGPU.csdata,"",@progbits
; Function info:
; codeLenInByte = 4740
; NumSgprs: 34
; NumVgprs: 36
; ScratchSize: 0
; MemoryBound: 0
	.text
	.p2align	2                               ; -- Begin function __assert_fail
	.type	__assert_fail,@function
__assert_fail:                          ; @__assert_fail
; %bb.0:
	s_waitcnt vmcnt(0) expcnt(0) lgkmcnt(0)
	s_mov_b32 s20, s33
	s_mov_b32 s33, s32
	s_or_saveexec_b32 s0, -1
	scratch_store_b32 off, v40, s33 offset:48 ; 4-byte Folded Spill
	s_mov_b32 exec_lo, s0
	v_writelane_b32 v40, s30, 0
	s_add_i32 s32, s32, 64
	v_writelane_b32 v40, s31, 1
	s_getpc_b64 s[0:1]
	s_add_u32 s0, s0, __const.__assert_fail.fmt@rel32@lo+4
	s_addc_u32 s1, s1, __const.__assert_fail.fmt@rel32@hi+12
	s_getpc_b64 s[2:3]
	s_add_u32 s2, s2, __const.__assert_fail.fmt@rel32@lo+20
	s_addc_u32 s3, s3, __const.__assert_fail.fmt@rel32@hi+28
	v_mbcnt_lo_u32_b32 v35, -1, 0
	s_clause 0x1
	s_load_b128 s[4:7], s[0:1], 0x0
	s_load_b128 s[12:15], s[2:3], 0x0
	s_load_b64 s[2:3], s[8:9], 0x50
	v_dual_mov_b32 v5, v1 :: v_dual_mov_b32 v4, v0
	v_mov_b32_e32 v14, 0x73256020
	v_readfirstlane_b32 s0, v35
	v_mov_b32_e32 v0, 0
	v_dual_mov_b32 v2, 0 :: v_dual_mov_b32 v3, 0xa2e
	v_mov_b32_e32 v15, 0x61662027
	v_dual_mov_b32 v16, 0x64656c69 :: v_dual_mov_b32 v1, 0
	v_cmp_eq_u32_e64 s0, s0, v35
	s_waitcnt lgkmcnt(0)
	v_dual_mov_b32 v9, s7 :: v_dual_mov_b32 v8, s6
	v_dual_mov_b32 v7, s5 :: v_dual_mov_b32 v6, s4
	;; [unrolled: 1-line block ×4, first 2 shown]
	s_clause 0x4
	scratch_store_b128 off, v[6:9], s33
	scratch_store_b128 off, v[10:13], s33 offset:16
	scratch_store_b8 off, v2, s33 offset:46
	scratch_store_b16 off, v3, s33 offset:44
	scratch_store_b96 off, v[14:16], s33 offset:32
	s_and_saveexec_b32 s1, s0
	s_cbranch_execz .LBB1_6
; %bb.1:
	global_load_b64 v[8:9], v2, s[2:3] offset:24 glc
	s_waitcnt vmcnt(0)
	buffer_gl1_inv
	buffer_gl0_inv
	s_clause 0x1
	global_load_b64 v[0:1], v2, s[2:3] offset:40
	global_load_b64 v[6:7], v2, s[2:3]
	s_mov_b32 s4, exec_lo
	s_waitcnt vmcnt(1)
	v_and_b32_e32 v1, v1, v9
	v_and_b32_e32 v0, v0, v8
	s_delay_alu instid0(VALU_DEP_2) | instskip(NEXT) | instid1(VALU_DEP_2)
	v_mul_lo_u32 v1, v1, 24
	v_mul_hi_u32 v3, v0, 24
	v_mul_lo_u32 v0, v0, 24
	s_delay_alu instid0(VALU_DEP_2) | instskip(SKIP_1) | instid1(VALU_DEP_2)
	v_add_nc_u32_e32 v1, v3, v1
	s_waitcnt vmcnt(0)
	v_add_co_u32 v0, vcc_lo, v6, v0
	s_delay_alu instid0(VALU_DEP_2)
	v_add_co_ci_u32_e32 v1, vcc_lo, v7, v1, vcc_lo
	global_load_b64 v[6:7], v[0:1], off glc
	s_waitcnt vmcnt(0)
	global_atomic_cmpswap_b64 v[0:1], v2, v[6:9], s[2:3] offset:24 glc
	s_waitcnt vmcnt(0)
	buffer_gl1_inv
	buffer_gl0_inv
	v_cmpx_ne_u64_e64 v[0:1], v[8:9]
	s_cbranch_execz .LBB1_5
; %bb.2:
	s_mov_b32 s5, 0
	.p2align	6
.LBB1_3:                                ; =>This Inner Loop Header: Depth=1
	s_sleep 1
	s_clause 0x1
	global_load_b64 v[6:7], v2, s[2:3] offset:40
	global_load_b64 v[10:11], v2, s[2:3]
	v_dual_mov_b32 v9, v1 :: v_dual_mov_b32 v8, v0
	s_waitcnt vmcnt(1)
	s_delay_alu instid0(VALU_DEP_1) | instskip(SKIP_1) | instid1(VALU_DEP_1)
	v_and_b32_e32 v3, v6, v8
	s_waitcnt vmcnt(0)
	v_mad_u64_u32 v[0:1], null, v3, 24, v[10:11]
	v_and_b32_e32 v3, v7, v9
	s_delay_alu instid0(VALU_DEP_1) | instskip(NEXT) | instid1(VALU_DEP_1)
	v_mad_u64_u32 v[6:7], null, v3, 24, v[1:2]
	v_mov_b32_e32 v1, v6
	global_load_b64 v[6:7], v[0:1], off glc
	s_waitcnt vmcnt(0)
	global_atomic_cmpswap_b64 v[0:1], v2, v[6:9], s[2:3] offset:24 glc
	s_waitcnt vmcnt(0)
	buffer_gl1_inv
	buffer_gl0_inv
	v_cmp_eq_u64_e32 vcc_lo, v[0:1], v[8:9]
	s_or_b32 s5, vcc_lo, s5
	s_delay_alu instid0(SALU_CYCLE_1)
	s_and_not1_b32 exec_lo, exec_lo, s5
	s_cbranch_execnz .LBB1_3
; %bb.4:
	s_or_b32 exec_lo, exec_lo, s5
.LBB1_5:
	s_delay_alu instid0(SALU_CYCLE_1)
	s_or_b32 exec_lo, exec_lo, s4
.LBB1_6:
	s_delay_alu instid0(SALU_CYCLE_1)
	s_or_b32 exec_lo, exec_lo, s1
	s_clause 0x1
	global_load_b64 v[10:11], v2, s[2:3] offset:40
	global_load_b128 v[6:9], v2, s[2:3]
	v_readfirstlane_b32 s4, v0
	v_readfirstlane_b32 s5, v1
	s_mov_b32 s1, exec_lo
	s_waitcnt vmcnt(1)
	v_readfirstlane_b32 s6, v10
	v_readfirstlane_b32 s7, v11
	s_delay_alu instid0(VALU_DEP_1) | instskip(NEXT) | instid1(SALU_CYCLE_1)
	s_and_b64 s[6:7], s[4:5], s[6:7]
	s_mul_i32 s10, s7, 24
	s_mul_hi_u32 s11, s6, 24
	s_mul_i32 s12, s6, 24
	s_add_i32 s11, s11, s10
	s_waitcnt vmcnt(0)
	v_add_co_u32 v10, vcc_lo, v6, s12
	v_add_co_ci_u32_e32 v11, vcc_lo, s11, v7, vcc_lo
	s_and_saveexec_b32 s10, s0
	s_cbranch_execz .LBB1_8
; %bb.7:
	v_dual_mov_b32 v0, s1 :: v_dual_mov_b32 v1, 0
	v_dual_mov_b32 v2, 2 :: v_dual_mov_b32 v3, 1
	global_store_b128 v[10:11], v[0:3], off offset:8
.LBB1_8:
	s_or_b32 exec_lo, exec_lo, s10
	s_lshl_b64 s[6:7], s[6:7], 12
	v_dual_mov_b32 v1, 0 :: v_dual_lshlrev_b32 v34, 6, v35
	v_add_co_u32 v8, vcc_lo, v8, s6
	v_add_co_ci_u32_e32 v9, vcc_lo, s7, v9, vcc_lo
	s_mov_b32 s12, 0
	s_delay_alu instid0(VALU_DEP_2)
	v_add_co_u32 v12, vcc_lo, v8, v34
	s_mov_b32 s15, s12
	s_mov_b32 s13, s12
	;; [unrolled: 1-line block ×3, first 2 shown]
	v_dual_mov_b32 v0, 33 :: v_dual_mov_b32 v3, v1
	v_dual_mov_b32 v2, 1 :: v_dual_mov_b32 v17, s15
	v_readfirstlane_b32 s6, v8
	v_readfirstlane_b32 s7, v9
	v_add_co_ci_u32_e32 v13, vcc_lo, 0, v9, vcc_lo
	v_dual_mov_b32 v16, s14 :: v_dual_mov_b32 v15, s13
	v_mov_b32_e32 v14, s12
	s_clause 0x3
	global_store_b128 v34, v[0:3], s[6:7]
	global_store_b128 v34, v[14:17], s[6:7] offset:16
	global_store_b128 v34, v[14:17], s[6:7] offset:32
	;; [unrolled: 1-line block ×3, first 2 shown]
	s_and_saveexec_b32 s1, s0
	s_cbranch_execz .LBB1_16
; %bb.9:
	s_clause 0x1
	global_load_b64 v[16:17], v1, s[2:3] offset:32 glc
	global_load_b64 v[2:3], v1, s[2:3] offset:40
	v_mov_b32_e32 v14, s4
	s_mov_b32 s6, exec_lo
	s_waitcnt vmcnt(0)
	v_dual_mov_b32 v15, s5 :: v_dual_and_b32 v0, s5, v3
	v_and_b32_e32 v2, s4, v2
	s_delay_alu instid0(VALU_DEP_2) | instskip(NEXT) | instid1(VALU_DEP_2)
	v_mul_lo_u32 v0, v0, 24
	v_mul_hi_u32 v3, v2, 24
	v_mul_lo_u32 v2, v2, 24
	s_delay_alu instid0(VALU_DEP_2) | instskip(NEXT) | instid1(VALU_DEP_2)
	v_add_nc_u32_e32 v0, v3, v0
	v_add_co_u32 v2, vcc_lo, v6, v2
	s_delay_alu instid0(VALU_DEP_2)
	v_add_co_ci_u32_e32 v3, vcc_lo, v7, v0, vcc_lo
	global_store_b64 v[2:3], v[16:17], off
	s_waitcnt_vscnt null, 0x0
	global_atomic_cmpswap_b64 v[8:9], v1, v[14:17], s[2:3] offset:32 glc
	s_waitcnt vmcnt(0)
	v_cmpx_ne_u64_e64 v[8:9], v[16:17]
	s_cbranch_execz .LBB1_12
; %bb.10:
	s_mov_b32 s7, 0
.LBB1_11:                               ; =>This Inner Loop Header: Depth=1
	v_dual_mov_b32 v6, s4 :: v_dual_mov_b32 v7, s5
	s_sleep 1
	global_store_b64 v[2:3], v[8:9], off
	s_waitcnt_vscnt null, 0x0
	global_atomic_cmpswap_b64 v[6:7], v1, v[6:9], s[2:3] offset:32 glc
	s_waitcnt vmcnt(0)
	v_cmp_eq_u64_e32 vcc_lo, v[6:7], v[8:9]
	v_dual_mov_b32 v9, v7 :: v_dual_mov_b32 v8, v6
	s_or_b32 s7, vcc_lo, s7
	s_delay_alu instid0(SALU_CYCLE_1)
	s_and_not1_b32 exec_lo, exec_lo, s7
	s_cbranch_execnz .LBB1_11
.LBB1_12:
	s_or_b32 exec_lo, exec_lo, s6
	v_mov_b32_e32 v3, 0
	s_mov_b32 s7, exec_lo
	s_mov_b32 s6, exec_lo
	v_mbcnt_lo_u32_b32 v2, s7, 0
	global_load_b64 v[0:1], v3, s[2:3] offset:16
	v_cmpx_eq_u32_e32 0, v2
	s_cbranch_execz .LBB1_14
; %bb.13:
	s_bcnt1_i32_b32 s7, s7
	s_delay_alu instid0(SALU_CYCLE_1)
	v_mov_b32_e32 v2, s7
	s_waitcnt vmcnt(0)
	global_atomic_add_u64 v[0:1], v[2:3], off offset:8
.LBB1_14:
	s_or_b32 exec_lo, exec_lo, s6
	s_waitcnt vmcnt(0)
	global_load_b64 v[2:3], v[0:1], off offset:16
	s_waitcnt vmcnt(0)
	v_cmp_eq_u64_e32 vcc_lo, 0, v[2:3]
	s_cbranch_vccnz .LBB1_16
; %bb.15:
	global_load_b32 v0, v[0:1], off offset:24
	s_waitcnt vmcnt(0)
	v_dual_mov_b32 v1, 0 :: v_dual_and_b32 v6, 0xffffff, v0
	s_waitcnt_vscnt null, 0x0
	global_store_b64 v[2:3], v[0:1], off
	v_readfirstlane_b32 m0, v6
	s_sendmsg sendmsg(MSG_INTERRUPT)
.LBB1_16:
	s_or_b32 exec_lo, exec_lo, s1
	s_branch .LBB1_20
	.p2align	6
.LBB1_17:                               ;   in Loop: Header=BB1_20 Depth=1
	s_or_b32 exec_lo, exec_lo, s1
	s_delay_alu instid0(VALU_DEP_1) | instskip(NEXT) | instid1(VALU_DEP_1)
	v_readfirstlane_b32 s1, v0
	s_cmp_eq_u32 s1, 0
	s_cbranch_scc1 .LBB1_19
; %bb.18:                               ;   in Loop: Header=BB1_20 Depth=1
	s_sleep 1
	s_cbranch_execnz .LBB1_20
	s_branch .LBB1_22
	.p2align	6
.LBB1_19:
	s_branch .LBB1_22
.LBB1_20:                               ; =>This Inner Loop Header: Depth=1
	v_mov_b32_e32 v0, 1
	s_and_saveexec_b32 s1, s0
	s_cbranch_execz .LBB1_17
; %bb.21:                               ;   in Loop: Header=BB1_20 Depth=1
	global_load_b32 v0, v[10:11], off offset:20 glc
	s_waitcnt vmcnt(0)
	buffer_gl1_inv
	buffer_gl0_inv
	v_and_b32_e32 v0, 1, v0
	s_branch .LBB1_17
.LBB1_22:
	global_load_b64 v[6:7], v[12:13], off
	s_and_saveexec_b32 s1, s0
	s_cbranch_execz .LBB1_26
; %bb.23:
	v_mov_b32_e32 v10, 0
	s_clause 0x2
	global_load_b64 v[2:3], v10, s[2:3] offset:40
	global_load_b64 v[11:12], v10, s[2:3] offset:24 glc
	global_load_b64 v[8:9], v10, s[2:3]
	s_waitcnt vmcnt(2)
	v_add_co_u32 v13, vcc_lo, v2, 1
	v_add_co_ci_u32_e32 v14, vcc_lo, 0, v3, vcc_lo
	s_delay_alu instid0(VALU_DEP_2) | instskip(NEXT) | instid1(VALU_DEP_2)
	v_add_co_u32 v0, vcc_lo, v13, s4
	v_add_co_ci_u32_e32 v1, vcc_lo, s5, v14, vcc_lo
	s_delay_alu instid0(VALU_DEP_1) | instskip(SKIP_1) | instid1(VALU_DEP_1)
	v_cmp_eq_u64_e32 vcc_lo, 0, v[0:1]
	v_dual_cndmask_b32 v1, v1, v14 :: v_dual_cndmask_b32 v0, v0, v13
	v_and_b32_e32 v3, v1, v3
	s_delay_alu instid0(VALU_DEP_2) | instskip(NEXT) | instid1(VALU_DEP_2)
	v_and_b32_e32 v2, v0, v2
	v_mul_lo_u32 v3, v3, 24
	s_delay_alu instid0(VALU_DEP_2) | instskip(SKIP_1) | instid1(VALU_DEP_2)
	v_mul_hi_u32 v13, v2, 24
	v_mul_lo_u32 v2, v2, 24
	v_add_nc_u32_e32 v3, v13, v3
	s_waitcnt vmcnt(0)
	s_delay_alu instid0(VALU_DEP_2) | instskip(SKIP_1) | instid1(VALU_DEP_3)
	v_add_co_u32 v8, vcc_lo, v8, v2
	v_mov_b32_e32 v2, v11
	v_add_co_ci_u32_e32 v9, vcc_lo, v9, v3, vcc_lo
	v_mov_b32_e32 v3, v12
	global_store_b64 v[8:9], v[11:12], off
	s_waitcnt_vscnt null, 0x0
	global_atomic_cmpswap_b64 v[2:3], v10, v[0:3], s[2:3] offset:24 glc
	s_waitcnt vmcnt(0)
	v_cmp_ne_u64_e32 vcc_lo, v[2:3], v[11:12]
	s_and_b32 exec_lo, exec_lo, vcc_lo
	s_cbranch_execz .LBB1_26
; %bb.24:
	s_mov_b32 s0, 0
.LBB1_25:                               ; =>This Inner Loop Header: Depth=1
	s_sleep 1
	global_store_b64 v[8:9], v[2:3], off
	s_waitcnt_vscnt null, 0x0
	global_atomic_cmpswap_b64 v[11:12], v10, v[0:3], s[2:3] offset:24 glc
	s_waitcnt vmcnt(0)
	v_cmp_eq_u64_e32 vcc_lo, v[11:12], v[2:3]
	v_dual_mov_b32 v2, v11 :: v_dual_mov_b32 v3, v12
	s_or_b32 s0, vcc_lo, s0
	s_delay_alu instid0(SALU_CYCLE_1)
	s_and_not1_b32 exec_lo, exec_lo, s0
	s_cbranch_execnz .LBB1_25
.LBB1_26:
	s_or_b32 exec_lo, exec_lo, s1
	v_mov_b32_e32 v1, s33
	s_mov_b32 s0, 0
.LBB1_27:                               ; =>This Inner Loop Header: Depth=1
	scratch_load_u8 v2, v1, off
	v_add_nc_u32_e32 v0, 1, v1
	s_delay_alu instid0(VALU_DEP_1) | instskip(SKIP_3) | instid1(SALU_CYCLE_1)
	v_mov_b32_e32 v1, v0
	s_waitcnt vmcnt(0)
	v_cmp_eq_u16_e32 vcc_lo, 0, v2
	s_or_b32 s0, vcc_lo, s0
	s_and_not1_b32 exec_lo, exec_lo, s0
	s_cbranch_execnz .LBB1_27
; %bb.28:
	s_or_b32 exec_lo, exec_lo, s0
	v_cmp_ne_u32_e64 s0, -1, s33
	s_delay_alu instid0(VALU_DEP_1)
	s_and_b32 vcc_lo, exec_lo, s0
	s_cbranch_vccz .LBB1_113
; %bb.29:
	v_subrev_nc_u32_e32 v28, s33, v0
	v_dual_mov_b32 v9, 0 :: v_dual_and_b32 v36, 2, v6
	v_dual_mov_b32 v1, v7 :: v_dual_and_b32 v0, -3, v6
	s_delay_alu instid0(VALU_DEP_3)
	v_ashrrev_i32_e32 v29, 31, v28
	v_dual_mov_b32 v37, s33 :: v_dual_mov_b32 v10, 2
	v_mov_b32_e32 v11, 1
	s_mov_b32 s11, 0
	s_mov_b32 s10, 0
	s_branch .LBB1_31
.LBB1_30:                               ;   in Loop: Header=BB1_31 Depth=1
	s_or_b32 exec_lo, exec_lo, s1
	v_sub_co_u32 v28, vcc_lo, v28, v30
	v_sub_co_ci_u32_e32 v29, vcc_lo, v29, v31, vcc_lo
	v_add_nc_u32_e32 v37, v37, v30
	s_delay_alu instid0(VALU_DEP_2) | instskip(SKIP_1) | instid1(SALU_CYCLE_1)
	v_cmp_eq_u64_e32 vcc_lo, 0, v[28:29]
	s_or_b32 s10, vcc_lo, s10
	s_and_not1_b32 exec_lo, exec_lo, s10
	s_cbranch_execz .LBB1_114
.LBB1_31:                               ; =>This Loop Header: Depth=1
                                        ;     Child Loop BB1_34 Depth 2
                                        ;     Child Loop BB1_42 Depth 2
	;; [unrolled: 1-line block ×11, first 2 shown]
	v_cmp_gt_u64_e32 vcc_lo, 56, v[28:29]
	s_mov_b32 s4, exec_lo
                                        ; implicit-def: $vgpr2_vgpr3
                                        ; implicit-def: $sgpr1
	v_dual_cndmask_b32 v31, 0, v29 :: v_dual_cndmask_b32 v30, 56, v28
	v_cmpx_gt_u64_e32 8, v[28:29]
	s_xor_b32 s4, exec_lo, s4
	s_cbranch_execz .LBB1_37
; %bb.32:                               ;   in Loop: Header=BB1_31 Depth=1
	s_waitcnt vmcnt(0)
	v_mov_b32_e32 v2, 0
	v_mov_b32_e32 v3, 0
	s_mov_b64 s[0:1], 0
	s_mov_b32 s5, exec_lo
	v_cmpx_ne_u64_e32 0, v[28:29]
	s_cbranch_execz .LBB1_36
; %bb.33:                               ;   in Loop: Header=BB1_31 Depth=1
	v_lshlrev_b64 v[12:13], 3, v[30:31]
	v_mov_b32_e32 v2, 0
	v_dual_mov_b32 v3, 0 :: v_dual_mov_b32 v8, v37
	s_mov_b32 s6, 0
.LBB1_34:                               ;   Parent Loop BB1_31 Depth=1
                                        ; =>  This Inner Loop Header: Depth=2
	scratch_load_u8 v13, v8, off
	v_mov_b32_e32 v14, s11
	v_add_nc_u32_e32 v8, 1, v8
	s_waitcnt vmcnt(0)
	v_and_b32_e32 v13, 0xffff, v13
	s_delay_alu instid0(VALU_DEP_1) | instskip(SKIP_3) | instid1(VALU_DEP_2)
	v_lshlrev_b64 v[13:14], s0, v[13:14]
	s_add_u32 s0, s0, 8
	s_addc_u32 s1, s1, 0
	v_cmp_eq_u32_e32 vcc_lo, s0, v12
	v_or_b32_e32 v3, v14, v3
	s_delay_alu instid0(VALU_DEP_3) | instskip(SKIP_1) | instid1(SALU_CYCLE_1)
	v_or_b32_e32 v2, v13, v2
	s_or_b32 s6, vcc_lo, s6
	s_and_not1_b32 exec_lo, exec_lo, s6
	s_cbranch_execnz .LBB1_34
; %bb.35:                               ;   in Loop: Header=BB1_31 Depth=1
	s_or_b32 exec_lo, exec_lo, s6
.LBB1_36:                               ;   in Loop: Header=BB1_31 Depth=1
	s_delay_alu instid0(SALU_CYCLE_1)
	s_or_b32 exec_lo, exec_lo, s5
	s_mov_b32 s1, 0
.LBB1_37:                               ;   in Loop: Header=BB1_31 Depth=1
	s_or_saveexec_b32 s0, s4
	v_mov_b32_e32 v14, s1
	v_mov_b32_e32 v8, v37
	s_xor_b32 exec_lo, exec_lo, s0
	s_cbranch_execz .LBB1_39
; %bb.38:                               ;   in Loop: Header=BB1_31 Depth=1
	scratch_load_b64 v[2:3], v37, off
	v_add_nc_u32_e32 v14, -8, v30
	s_waitcnt vmcnt(0)
	v_and_b32_e32 v8, 0xff, v3
	v_and_b32_e32 v12, 0xff00, v3
	;; [unrolled: 1-line block ×4, first 2 shown]
	v_or3_b32 v2, v2, 0, 0
	s_delay_alu instid0(VALU_DEP_4) | instskip(NEXT) | instid1(VALU_DEP_1)
	v_or_b32_e32 v8, v8, v12
	v_or3_b32 v3, v8, v13, v3
	v_add_nc_u32_e32 v8, 8, v37
.LBB1_39:                               ;   in Loop: Header=BB1_31 Depth=1
	s_or_b32 exec_lo, exec_lo, s0
                                        ; implicit-def: $vgpr12_vgpr13
                                        ; implicit-def: $sgpr1
	s_delay_alu instid0(SALU_CYCLE_1)
	s_mov_b32 s0, exec_lo
	v_cmpx_gt_u32_e32 8, v14
	s_xor_b32 s4, exec_lo, s0
	s_cbranch_execz .LBB1_45
; %bb.40:                               ;   in Loop: Header=BB1_31 Depth=1
	v_mov_b32_e32 v12, 0
	v_mov_b32_e32 v13, 0
	s_mov_b32 s5, exec_lo
	v_cmpx_ne_u32_e32 0, v14
	s_cbranch_execz .LBB1_44
; %bb.41:                               ;   in Loop: Header=BB1_31 Depth=1
	v_mov_b32_e32 v12, 0
	v_mov_b32_e32 v13, 0
	s_mov_b64 s[0:1], 0
	s_mov_b32 s6, 0
	s_mov_b32 s7, 0
	.p2align	6
.LBB1_42:                               ;   Parent Loop BB1_31 Depth=1
                                        ; =>  This Inner Loop Header: Depth=2
	s_delay_alu instid0(SALU_CYCLE_1) | instskip(SKIP_1) | instid1(SALU_CYCLE_1)
	v_dual_mov_b32 v16, s11 :: v_dual_add_nc_u32 v15, s7, v8
	s_add_i32 s7, s7, 1
	v_cmp_eq_u32_e32 vcc_lo, s7, v14
	scratch_load_u8 v15, v15, off
	s_waitcnt vmcnt(0)
	v_and_b32_e32 v15, 0xffff, v15
	s_delay_alu instid0(VALU_DEP_1) | instskip(SKIP_3) | instid1(VALU_DEP_1)
	v_lshlrev_b64 v[15:16], s0, v[15:16]
	s_add_u32 s0, s0, 8
	s_addc_u32 s1, s1, 0
	s_or_b32 s6, vcc_lo, s6
	v_or_b32_e32 v13, v16, v13
	s_delay_alu instid0(VALU_DEP_2)
	v_or_b32_e32 v12, v15, v12
	s_and_not1_b32 exec_lo, exec_lo, s6
	s_cbranch_execnz .LBB1_42
; %bb.43:                               ;   in Loop: Header=BB1_31 Depth=1
	s_or_b32 exec_lo, exec_lo, s6
.LBB1_44:                               ;   in Loop: Header=BB1_31 Depth=1
	s_delay_alu instid0(SALU_CYCLE_1)
	s_or_b32 exec_lo, exec_lo, s5
	s_mov_b32 s1, 0
                                        ; implicit-def: $vgpr14
.LBB1_45:                               ;   in Loop: Header=BB1_31 Depth=1
	s_or_saveexec_b32 s0, s4
	v_mov_b32_e32 v16, s1
	s_xor_b32 exec_lo, exec_lo, s0
	s_cbranch_execz .LBB1_47
; %bb.46:                               ;   in Loop: Header=BB1_31 Depth=1
	scratch_load_b64 v[12:13], v8, off
	v_add_nc_u32_e32 v8, 8, v8
	s_waitcnt vmcnt(0)
	v_and_b32_e32 v15, 0xff, v13
	v_and_b32_e32 v16, 0xff00, v13
	;; [unrolled: 1-line block ×4, first 2 shown]
	v_or3_b32 v12, v12, 0, 0
	s_delay_alu instid0(VALU_DEP_4) | instskip(SKIP_1) | instid1(VALU_DEP_2)
	v_or_b32_e32 v15, v15, v16
	v_add_nc_u32_e32 v16, -8, v14
	v_or3_b32 v13, v15, v17, v13
.LBB1_47:                               ;   in Loop: Header=BB1_31 Depth=1
	s_or_b32 exec_lo, exec_lo, s0
                                        ; implicit-def: $sgpr1
	s_delay_alu instid0(SALU_CYCLE_1) | instskip(NEXT) | instid1(VALU_DEP_1)
	s_mov_b32 s0, exec_lo
	v_cmpx_gt_u32_e32 8, v16
	s_xor_b32 s4, exec_lo, s0
	s_cbranch_execz .LBB1_53
; %bb.48:                               ;   in Loop: Header=BB1_31 Depth=1
	v_mov_b32_e32 v14, 0
	v_mov_b32_e32 v15, 0
	s_mov_b32 s5, exec_lo
	v_cmpx_ne_u32_e32 0, v16
	s_cbranch_execz .LBB1_52
; %bb.49:                               ;   in Loop: Header=BB1_31 Depth=1
	v_mov_b32_e32 v14, 0
	v_mov_b32_e32 v15, 0
	s_mov_b64 s[0:1], 0
	s_mov_b32 s6, 0
	s_mov_b32 s7, 0
	.p2align	6
.LBB1_50:                               ;   Parent Loop BB1_31 Depth=1
                                        ; =>  This Inner Loop Header: Depth=2
	s_delay_alu instid0(SALU_CYCLE_1) | instskip(SKIP_1) | instid1(SALU_CYCLE_1)
	v_dual_mov_b32 v18, s11 :: v_dual_add_nc_u32 v17, s7, v8
	s_add_i32 s7, s7, 1
	v_cmp_eq_u32_e32 vcc_lo, s7, v16
	scratch_load_u8 v17, v17, off
	s_waitcnt vmcnt(0)
	v_and_b32_e32 v17, 0xffff, v17
	s_delay_alu instid0(VALU_DEP_1) | instskip(SKIP_3) | instid1(VALU_DEP_1)
	v_lshlrev_b64 v[17:18], s0, v[17:18]
	s_add_u32 s0, s0, 8
	s_addc_u32 s1, s1, 0
	s_or_b32 s6, vcc_lo, s6
	v_or_b32_e32 v15, v18, v15
	s_delay_alu instid0(VALU_DEP_2)
	v_or_b32_e32 v14, v17, v14
	s_and_not1_b32 exec_lo, exec_lo, s6
	s_cbranch_execnz .LBB1_50
; %bb.51:                               ;   in Loop: Header=BB1_31 Depth=1
	s_or_b32 exec_lo, exec_lo, s6
.LBB1_52:                               ;   in Loop: Header=BB1_31 Depth=1
	s_delay_alu instid0(SALU_CYCLE_1)
	s_or_b32 exec_lo, exec_lo, s5
	s_mov_b32 s1, 0
                                        ; implicit-def: $vgpr16
.LBB1_53:                               ;   in Loop: Header=BB1_31 Depth=1
	s_or_saveexec_b32 s0, s4
	v_mov_b32_e32 v18, s1
	s_xor_b32 exec_lo, exec_lo, s0
	s_cbranch_execz .LBB1_55
; %bb.54:                               ;   in Loop: Header=BB1_31 Depth=1
	scratch_load_b64 v[14:15], v8, off
	v_add_nc_u32_e32 v8, 8, v8
	s_waitcnt vmcnt(0)
	v_and_b32_e32 v17, 0xff, v15
	v_and_b32_e32 v18, 0xff00, v15
	;; [unrolled: 1-line block ×4, first 2 shown]
	v_or3_b32 v14, v14, 0, 0
	s_delay_alu instid0(VALU_DEP_4) | instskip(SKIP_1) | instid1(VALU_DEP_2)
	v_or_b32_e32 v17, v17, v18
	v_add_nc_u32_e32 v18, -8, v16
	v_or3_b32 v15, v17, v19, v15
.LBB1_55:                               ;   in Loop: Header=BB1_31 Depth=1
	s_or_b32 exec_lo, exec_lo, s0
                                        ; implicit-def: $vgpr16_vgpr17
                                        ; implicit-def: $sgpr1
	s_delay_alu instid0(SALU_CYCLE_1) | instskip(NEXT) | instid1(VALU_DEP_1)
	s_mov_b32 s0, exec_lo
	v_cmpx_gt_u32_e32 8, v18
	s_xor_b32 s4, exec_lo, s0
	s_cbranch_execz .LBB1_61
; %bb.56:                               ;   in Loop: Header=BB1_31 Depth=1
	v_mov_b32_e32 v16, 0
	v_mov_b32_e32 v17, 0
	s_mov_b32 s5, exec_lo
	v_cmpx_ne_u32_e32 0, v18
	s_cbranch_execz .LBB1_60
; %bb.57:                               ;   in Loop: Header=BB1_31 Depth=1
	v_mov_b32_e32 v16, 0
	v_mov_b32_e32 v17, 0
	s_mov_b64 s[0:1], 0
	s_mov_b32 s6, 0
	s_mov_b32 s7, 0
	.p2align	6
.LBB1_58:                               ;   Parent Loop BB1_31 Depth=1
                                        ; =>  This Inner Loop Header: Depth=2
	s_delay_alu instid0(SALU_CYCLE_1) | instskip(SKIP_1) | instid1(SALU_CYCLE_1)
	v_dual_mov_b32 v20, s11 :: v_dual_add_nc_u32 v19, s7, v8
	s_add_i32 s7, s7, 1
	v_cmp_eq_u32_e32 vcc_lo, s7, v18
	scratch_load_u8 v19, v19, off
	s_waitcnt vmcnt(0)
	v_and_b32_e32 v19, 0xffff, v19
	s_delay_alu instid0(VALU_DEP_1) | instskip(SKIP_3) | instid1(VALU_DEP_1)
	v_lshlrev_b64 v[19:20], s0, v[19:20]
	s_add_u32 s0, s0, 8
	s_addc_u32 s1, s1, 0
	s_or_b32 s6, vcc_lo, s6
	v_or_b32_e32 v17, v20, v17
	s_delay_alu instid0(VALU_DEP_2)
	v_or_b32_e32 v16, v19, v16
	s_and_not1_b32 exec_lo, exec_lo, s6
	s_cbranch_execnz .LBB1_58
; %bb.59:                               ;   in Loop: Header=BB1_31 Depth=1
	s_or_b32 exec_lo, exec_lo, s6
.LBB1_60:                               ;   in Loop: Header=BB1_31 Depth=1
	s_delay_alu instid0(SALU_CYCLE_1)
	s_or_b32 exec_lo, exec_lo, s5
	s_mov_b32 s1, 0
                                        ; implicit-def: $vgpr18
.LBB1_61:                               ;   in Loop: Header=BB1_31 Depth=1
	s_or_saveexec_b32 s0, s4
	v_mov_b32_e32 v20, s1
	s_xor_b32 exec_lo, exec_lo, s0
	s_cbranch_execz .LBB1_63
; %bb.62:                               ;   in Loop: Header=BB1_31 Depth=1
	scratch_load_b64 v[16:17], v8, off
	v_add_nc_u32_e32 v8, 8, v8
	s_waitcnt vmcnt(0)
	v_and_b32_e32 v19, 0xff, v17
	v_and_b32_e32 v20, 0xff00, v17
	v_and_b32_e32 v21, 0xff0000, v17
	v_and_b32_e32 v17, 0xff000000, v17
	v_or3_b32 v16, v16, 0, 0
	s_delay_alu instid0(VALU_DEP_4) | instskip(SKIP_1) | instid1(VALU_DEP_2)
	v_or_b32_e32 v19, v19, v20
	v_add_nc_u32_e32 v20, -8, v18
	v_or3_b32 v17, v19, v21, v17
.LBB1_63:                               ;   in Loop: Header=BB1_31 Depth=1
	s_or_b32 exec_lo, exec_lo, s0
                                        ; implicit-def: $sgpr1
	s_delay_alu instid0(SALU_CYCLE_1) | instskip(NEXT) | instid1(VALU_DEP_1)
	s_mov_b32 s0, exec_lo
	v_cmpx_gt_u32_e32 8, v20
	s_xor_b32 s4, exec_lo, s0
	s_cbranch_execz .LBB1_69
; %bb.64:                               ;   in Loop: Header=BB1_31 Depth=1
	v_mov_b32_e32 v18, 0
	v_mov_b32_e32 v19, 0
	s_mov_b32 s5, exec_lo
	v_cmpx_ne_u32_e32 0, v20
	s_cbranch_execz .LBB1_68
; %bb.65:                               ;   in Loop: Header=BB1_31 Depth=1
	v_mov_b32_e32 v18, 0
	v_mov_b32_e32 v19, 0
	s_mov_b64 s[0:1], 0
	s_mov_b32 s6, 0
	s_mov_b32 s7, 0
	.p2align	6
.LBB1_66:                               ;   Parent Loop BB1_31 Depth=1
                                        ; =>  This Inner Loop Header: Depth=2
	s_delay_alu instid0(SALU_CYCLE_1) | instskip(SKIP_1) | instid1(SALU_CYCLE_1)
	v_dual_mov_b32 v22, s11 :: v_dual_add_nc_u32 v21, s7, v8
	s_add_i32 s7, s7, 1
	v_cmp_eq_u32_e32 vcc_lo, s7, v20
	scratch_load_u8 v21, v21, off
	s_waitcnt vmcnt(0)
	v_and_b32_e32 v21, 0xffff, v21
	s_delay_alu instid0(VALU_DEP_1) | instskip(SKIP_3) | instid1(VALU_DEP_1)
	v_lshlrev_b64 v[21:22], s0, v[21:22]
	s_add_u32 s0, s0, 8
	s_addc_u32 s1, s1, 0
	s_or_b32 s6, vcc_lo, s6
	v_or_b32_e32 v19, v22, v19
	s_delay_alu instid0(VALU_DEP_2)
	v_or_b32_e32 v18, v21, v18
	s_and_not1_b32 exec_lo, exec_lo, s6
	s_cbranch_execnz .LBB1_66
; %bb.67:                               ;   in Loop: Header=BB1_31 Depth=1
	s_or_b32 exec_lo, exec_lo, s6
.LBB1_68:                               ;   in Loop: Header=BB1_31 Depth=1
	s_delay_alu instid0(SALU_CYCLE_1)
	s_or_b32 exec_lo, exec_lo, s5
	s_mov_b32 s1, 0
                                        ; implicit-def: $vgpr20
.LBB1_69:                               ;   in Loop: Header=BB1_31 Depth=1
	s_or_saveexec_b32 s0, s4
	v_mov_b32_e32 v22, s1
	s_xor_b32 exec_lo, exec_lo, s0
	s_cbranch_execz .LBB1_71
; %bb.70:                               ;   in Loop: Header=BB1_31 Depth=1
	scratch_load_b64 v[18:19], v8, off
	v_add_nc_u32_e32 v8, 8, v8
	s_waitcnt vmcnt(0)
	v_and_b32_e32 v21, 0xff, v19
	v_and_b32_e32 v22, 0xff00, v19
	v_and_b32_e32 v23, 0xff0000, v19
	v_and_b32_e32 v19, 0xff000000, v19
	v_or3_b32 v18, v18, 0, 0
	s_delay_alu instid0(VALU_DEP_4) | instskip(SKIP_1) | instid1(VALU_DEP_2)
	v_or_b32_e32 v21, v21, v22
	v_add_nc_u32_e32 v22, -8, v20
	v_or3_b32 v19, v21, v23, v19
.LBB1_71:                               ;   in Loop: Header=BB1_31 Depth=1
	s_or_b32 exec_lo, exec_lo, s0
                                        ; implicit-def: $vgpr20_vgpr21
                                        ; implicit-def: $sgpr1
	s_delay_alu instid0(SALU_CYCLE_1) | instskip(NEXT) | instid1(VALU_DEP_1)
	s_mov_b32 s0, exec_lo
	v_cmpx_gt_u32_e32 8, v22
	s_xor_b32 s4, exec_lo, s0
	s_cbranch_execz .LBB1_77
; %bb.72:                               ;   in Loop: Header=BB1_31 Depth=1
	v_mov_b32_e32 v20, 0
	v_mov_b32_e32 v21, 0
	s_mov_b32 s5, exec_lo
	v_cmpx_ne_u32_e32 0, v22
	s_cbranch_execz .LBB1_76
; %bb.73:                               ;   in Loop: Header=BB1_31 Depth=1
	v_mov_b32_e32 v20, 0
	v_mov_b32_e32 v21, 0
	s_mov_b64 s[0:1], 0
	s_mov_b32 s6, 0
	s_mov_b32 s7, 0
	.p2align	6
.LBB1_74:                               ;   Parent Loop BB1_31 Depth=1
                                        ; =>  This Inner Loop Header: Depth=2
	s_delay_alu instid0(SALU_CYCLE_1) | instskip(SKIP_1) | instid1(SALU_CYCLE_1)
	v_dual_mov_b32 v24, s11 :: v_dual_add_nc_u32 v23, s7, v8
	s_add_i32 s7, s7, 1
	v_cmp_eq_u32_e32 vcc_lo, s7, v22
	scratch_load_u8 v23, v23, off
	s_waitcnt vmcnt(0)
	v_and_b32_e32 v23, 0xffff, v23
	s_delay_alu instid0(VALU_DEP_1) | instskip(SKIP_3) | instid1(VALU_DEP_1)
	v_lshlrev_b64 v[23:24], s0, v[23:24]
	s_add_u32 s0, s0, 8
	s_addc_u32 s1, s1, 0
	s_or_b32 s6, vcc_lo, s6
	v_or_b32_e32 v21, v24, v21
	s_delay_alu instid0(VALU_DEP_2)
	v_or_b32_e32 v20, v23, v20
	s_and_not1_b32 exec_lo, exec_lo, s6
	s_cbranch_execnz .LBB1_74
; %bb.75:                               ;   in Loop: Header=BB1_31 Depth=1
	s_or_b32 exec_lo, exec_lo, s6
.LBB1_76:                               ;   in Loop: Header=BB1_31 Depth=1
	s_delay_alu instid0(SALU_CYCLE_1)
	s_or_b32 exec_lo, exec_lo, s5
	s_mov_b32 s1, 0
                                        ; implicit-def: $vgpr22
.LBB1_77:                               ;   in Loop: Header=BB1_31 Depth=1
	s_or_saveexec_b32 s0, s4
	v_mov_b32_e32 v24, s1
	s_xor_b32 exec_lo, exec_lo, s0
	s_cbranch_execz .LBB1_79
; %bb.78:                               ;   in Loop: Header=BB1_31 Depth=1
	scratch_load_b64 v[20:21], v8, off
	v_add_nc_u32_e32 v8, 8, v8
	s_waitcnt vmcnt(0)
	v_and_b32_e32 v23, 0xff, v21
	v_and_b32_e32 v24, 0xff00, v21
	;; [unrolled: 1-line block ×4, first 2 shown]
	v_or3_b32 v20, v20, 0, 0
	s_delay_alu instid0(VALU_DEP_4) | instskip(SKIP_1) | instid1(VALU_DEP_2)
	v_or_b32_e32 v23, v23, v24
	v_add_nc_u32_e32 v24, -8, v22
	v_or3_b32 v21, v23, v25, v21
.LBB1_79:                               ;   in Loop: Header=BB1_31 Depth=1
	s_or_b32 exec_lo, exec_lo, s0
	s_delay_alu instid0(SALU_CYCLE_1) | instskip(NEXT) | instid1(VALU_DEP_1)
	s_mov_b32 s0, exec_lo
	v_cmpx_gt_u32_e32 8, v24
	s_xor_b32 s4, exec_lo, s0
	s_cbranch_execz .LBB1_85
; %bb.80:                               ;   in Loop: Header=BB1_31 Depth=1
	v_mov_b32_e32 v22, 0
	v_mov_b32_e32 v23, 0
	s_mov_b32 s5, exec_lo
	v_cmpx_ne_u32_e32 0, v24
	s_cbranch_execz .LBB1_84
; %bb.81:                               ;   in Loop: Header=BB1_31 Depth=1
	v_mov_b32_e32 v22, 0
	v_mov_b32_e32 v23, 0
	s_mov_b64 s[0:1], 0
	s_mov_b32 s6, 0
	.p2align	6
.LBB1_82:                               ;   Parent Loop BB1_31 Depth=1
                                        ; =>  This Inner Loop Header: Depth=2
	scratch_load_u8 v25, v8, off
	v_mov_b32_e32 v26, s11
	v_add_nc_u32_e32 v24, -1, v24
	v_add_nc_u32_e32 v8, 1, v8
	s_delay_alu instid0(VALU_DEP_2) | instskip(SKIP_2) | instid1(VALU_DEP_1)
	v_cmp_eq_u32_e32 vcc_lo, 0, v24
	s_waitcnt vmcnt(0)
	v_and_b32_e32 v25, 0xffff, v25
	v_lshlrev_b64 v[25:26], s0, v[25:26]
	s_add_u32 s0, s0, 8
	s_addc_u32 s1, s1, 0
	s_or_b32 s6, vcc_lo, s6
	s_delay_alu instid0(VALU_DEP_1) | instskip(NEXT) | instid1(VALU_DEP_2)
	v_or_b32_e32 v23, v26, v23
	v_or_b32_e32 v22, v25, v22
	s_and_not1_b32 exec_lo, exec_lo, s6
	s_cbranch_execnz .LBB1_82
; %bb.83:                               ;   in Loop: Header=BB1_31 Depth=1
	s_or_b32 exec_lo, exec_lo, s6
.LBB1_84:                               ;   in Loop: Header=BB1_31 Depth=1
	s_delay_alu instid0(SALU_CYCLE_1)
	s_or_b32 exec_lo, exec_lo, s5
                                        ; implicit-def: $vgpr8
.LBB1_85:                               ;   in Loop: Header=BB1_31 Depth=1
	s_and_not1_saveexec_b32 s0, s4
	s_cbranch_execz .LBB1_87
; %bb.86:                               ;   in Loop: Header=BB1_31 Depth=1
	scratch_load_b64 v[22:23], v8, off
	s_waitcnt vmcnt(0)
	v_and_b32_e32 v8, 0xff, v23
	v_and_b32_e32 v24, 0xff00, v23
	v_and_b32_e32 v25, 0xff0000, v23
	v_and_b32_e32 v23, 0xff000000, v23
	v_or3_b32 v22, v22, 0, 0
	s_delay_alu instid0(VALU_DEP_4) | instskip(NEXT) | instid1(VALU_DEP_1)
	v_or_b32_e32 v8, v8, v24
	v_or3_b32 v23, v8, v25, v23
.LBB1_87:                               ;   in Loop: Header=BB1_31 Depth=1
	s_or_b32 exec_lo, exec_lo, s0
	v_readfirstlane_b32 s0, v35
	v_mov_b32_e32 v32, 0
	v_mov_b32_e32 v33, 0
	s_delay_alu instid0(VALU_DEP_3) | instskip(NEXT) | instid1(VALU_DEP_1)
	v_cmp_eq_u32_e64 s0, s0, v35
	s_and_saveexec_b32 s1, s0
	s_cbranch_execz .LBB1_93
; %bb.88:                               ;   in Loop: Header=BB1_31 Depth=1
	global_load_b64 v[26:27], v9, s[2:3] offset:24 glc
	s_waitcnt vmcnt(0)
	buffer_gl1_inv
	buffer_gl0_inv
	s_clause 0x1
	global_load_b64 v[24:25], v9, s[2:3] offset:40
	global_load_b64 v[32:33], v9, s[2:3]
	s_mov_b32 s4, exec_lo
	s_waitcnt vmcnt(1)
	v_and_b32_e32 v8, v25, v27
	v_and_b32_e32 v24, v24, v26
	s_delay_alu instid0(VALU_DEP_2) | instskip(NEXT) | instid1(VALU_DEP_2)
	v_mul_lo_u32 v8, v8, 24
	v_mul_hi_u32 v25, v24, 24
	v_mul_lo_u32 v24, v24, 24
	s_delay_alu instid0(VALU_DEP_2) | instskip(SKIP_1) | instid1(VALU_DEP_2)
	v_add_nc_u32_e32 v8, v25, v8
	s_waitcnt vmcnt(0)
	v_add_co_u32 v24, vcc_lo, v32, v24
	s_delay_alu instid0(VALU_DEP_2)
	v_add_co_ci_u32_e32 v25, vcc_lo, v33, v8, vcc_lo
	global_load_b64 v[24:25], v[24:25], off glc
	s_waitcnt vmcnt(0)
	global_atomic_cmpswap_b64 v[32:33], v9, v[24:27], s[2:3] offset:24 glc
	s_waitcnt vmcnt(0)
	buffer_gl1_inv
	buffer_gl0_inv
	v_cmpx_ne_u64_e64 v[32:33], v[26:27]
	s_cbranch_execz .LBB1_92
; %bb.89:                               ;   in Loop: Header=BB1_31 Depth=1
	s_mov_b32 s5, 0
	.p2align	6
.LBB1_90:                               ;   Parent Loop BB1_31 Depth=1
                                        ; =>  This Inner Loop Header: Depth=2
	s_sleep 1
	s_clause 0x1
	global_load_b64 v[24:25], v9, s[2:3] offset:40
	global_load_b64 v[38:39], v9, s[2:3]
	v_dual_mov_b32 v26, v32 :: v_dual_mov_b32 v27, v33
	s_waitcnt vmcnt(1)
	s_delay_alu instid0(VALU_DEP_1) | instskip(SKIP_1) | instid1(VALU_DEP_1)
	v_and_b32_e32 v8, v24, v26
	s_waitcnt vmcnt(0)
	v_mad_u64_u32 v[32:33], null, v8, 24, v[38:39]
	v_and_b32_e32 v38, v25, v27
	s_delay_alu instid0(VALU_DEP_2) | instskip(NEXT) | instid1(VALU_DEP_1)
	v_mov_b32_e32 v8, v33
	v_mad_u64_u32 v[24:25], null, v38, 24, v[8:9]
	s_delay_alu instid0(VALU_DEP_1)
	v_mov_b32_e32 v33, v24
	global_load_b64 v[24:25], v[32:33], off glc
	s_waitcnt vmcnt(0)
	global_atomic_cmpswap_b64 v[32:33], v9, v[24:27], s[2:3] offset:24 glc
	s_waitcnt vmcnt(0)
	buffer_gl1_inv
	buffer_gl0_inv
	v_cmp_eq_u64_e32 vcc_lo, v[32:33], v[26:27]
	s_or_b32 s5, vcc_lo, s5
	s_delay_alu instid0(SALU_CYCLE_1)
	s_and_not1_b32 exec_lo, exec_lo, s5
	s_cbranch_execnz .LBB1_90
; %bb.91:                               ;   in Loop: Header=BB1_31 Depth=1
	s_or_b32 exec_lo, exec_lo, s5
.LBB1_92:                               ;   in Loop: Header=BB1_31 Depth=1
	s_delay_alu instid0(SALU_CYCLE_1)
	s_or_b32 exec_lo, exec_lo, s4
.LBB1_93:                               ;   in Loop: Header=BB1_31 Depth=1
	s_delay_alu instid0(SALU_CYCLE_1)
	s_or_b32 exec_lo, exec_lo, s1
	s_clause 0x1
	global_load_b64 v[38:39], v9, s[2:3] offset:40
	global_load_b128 v[24:27], v9, s[2:3]
	v_readfirstlane_b32 s4, v32
	v_readfirstlane_b32 s5, v33
	s_mov_b32 s1, exec_lo
	s_waitcnt vmcnt(1)
	v_readfirstlane_b32 s6, v38
	v_readfirstlane_b32 s7, v39
	s_delay_alu instid0(VALU_DEP_1) | instskip(NEXT) | instid1(SALU_CYCLE_1)
	s_and_b64 s[6:7], s[4:5], s[6:7]
	s_mul_i32 s12, s7, 24
	s_mul_hi_u32 s13, s6, 24
	s_mul_i32 s14, s6, 24
	s_add_i32 s13, s13, s12
	s_waitcnt vmcnt(0)
	v_add_co_u32 v32, vcc_lo, v24, s14
	v_add_co_ci_u32_e32 v33, vcc_lo, s13, v25, vcc_lo
	s_and_saveexec_b32 s12, s0
	s_cbranch_execz .LBB1_95
; %bb.94:                               ;   in Loop: Header=BB1_31 Depth=1
	v_mov_b32_e32 v8, s1
	global_store_b128 v[32:33], v[8:11], off offset:8
.LBB1_95:                               ;   in Loop: Header=BB1_31 Depth=1
	s_or_b32 exec_lo, exec_lo, s12
	v_cmp_lt_u64_e32 vcc_lo, 56, v[28:29]
	v_or_b32_e32 v8, 0, v1
	v_or_b32_e32 v38, v0, v36
	v_lshl_add_u32 v39, v30, 2, 28
	s_lshl_b64 s[6:7], s[6:7], 12
	s_delay_alu instid0(SALU_CYCLE_1) | instskip(NEXT) | instid1(VALU_DEP_1)
	v_add_co_u32 v26, s1, v26, s6
	v_add_co_ci_u32_e64 v27, s1, s7, v27, s1
	v_dual_cndmask_b32 v1, v8, v1 :: v_dual_cndmask_b32 v0, v38, v0
	v_and_b32_e32 v8, 0x1e0, v39
	s_delay_alu instid0(VALU_DEP_4) | instskip(NEXT) | instid1(VALU_DEP_4)
	v_readfirstlane_b32 s6, v26
	v_readfirstlane_b32 s7, v27
	s_delay_alu instid0(VALU_DEP_3)
	v_and_or_b32 v0, 0xffffff1f, v0, v8
	s_clause 0x3
	global_store_b128 v34, v[0:3], s[6:7]
	global_store_b128 v34, v[12:15], s[6:7] offset:16
	global_store_b128 v34, v[16:19], s[6:7] offset:32
	;; [unrolled: 1-line block ×3, first 2 shown]
	s_and_saveexec_b32 s1, s0
	s_cbranch_execz .LBB1_103
; %bb.96:                               ;   in Loop: Header=BB1_31 Depth=1
	s_clause 0x1
	global_load_b64 v[16:17], v9, s[2:3] offset:32 glc
	global_load_b64 v[0:1], v9, s[2:3] offset:40
	v_dual_mov_b32 v14, s4 :: v_dual_mov_b32 v15, s5
	s_waitcnt vmcnt(0)
	v_readfirstlane_b32 s6, v0
	v_readfirstlane_b32 s7, v1
	s_delay_alu instid0(VALU_DEP_1) | instskip(NEXT) | instid1(SALU_CYCLE_1)
	s_and_b64 s[6:7], s[6:7], s[4:5]
	s_mul_i32 s7, s7, 24
	s_mul_hi_u32 s12, s6, 24
	s_mul_i32 s6, s6, 24
	s_add_i32 s12, s12, s7
	v_add_co_u32 v12, vcc_lo, v24, s6
	v_add_co_ci_u32_e32 v13, vcc_lo, s12, v25, vcc_lo
	s_mov_b32 s6, exec_lo
	global_store_b64 v[12:13], v[16:17], off
	s_waitcnt_vscnt null, 0x0
	global_atomic_cmpswap_b64 v[2:3], v9, v[14:17], s[2:3] offset:32 glc
	s_waitcnt vmcnt(0)
	v_cmpx_ne_u64_e64 v[2:3], v[16:17]
	s_cbranch_execz .LBB1_99
; %bb.97:                               ;   in Loop: Header=BB1_31 Depth=1
	s_mov_b32 s7, 0
.LBB1_98:                               ;   Parent Loop BB1_31 Depth=1
                                        ; =>  This Inner Loop Header: Depth=2
	v_dual_mov_b32 v0, s4 :: v_dual_mov_b32 v1, s5
	s_sleep 1
	global_store_b64 v[12:13], v[2:3], off
	s_waitcnt_vscnt null, 0x0
	global_atomic_cmpswap_b64 v[0:1], v9, v[0:3], s[2:3] offset:32 glc
	s_waitcnt vmcnt(0)
	v_cmp_eq_u64_e32 vcc_lo, v[0:1], v[2:3]
	v_dual_mov_b32 v3, v1 :: v_dual_mov_b32 v2, v0
	s_or_b32 s7, vcc_lo, s7
	s_delay_alu instid0(SALU_CYCLE_1)
	s_and_not1_b32 exec_lo, exec_lo, s7
	s_cbranch_execnz .LBB1_98
.LBB1_99:                               ;   in Loop: Header=BB1_31 Depth=1
	s_or_b32 exec_lo, exec_lo, s6
	global_load_b64 v[0:1], v9, s[2:3] offset:16
	s_mov_b32 s7, exec_lo
	s_mov_b32 s6, exec_lo
	v_mbcnt_lo_u32_b32 v2, s7, 0
	s_delay_alu instid0(VALU_DEP_1)
	v_cmpx_eq_u32_e32 0, v2
	s_cbranch_execz .LBB1_101
; %bb.100:                              ;   in Loop: Header=BB1_31 Depth=1
	s_bcnt1_i32_b32 s7, s7
	s_delay_alu instid0(SALU_CYCLE_1)
	v_mov_b32_e32 v8, s7
	s_waitcnt vmcnt(0)
	global_atomic_add_u64 v[0:1], v[8:9], off offset:8
.LBB1_101:                              ;   in Loop: Header=BB1_31 Depth=1
	s_or_b32 exec_lo, exec_lo, s6
	s_waitcnt vmcnt(0)
	global_load_b64 v[2:3], v[0:1], off offset:16
	s_waitcnt vmcnt(0)
	v_cmp_eq_u64_e32 vcc_lo, 0, v[2:3]
	s_cbranch_vccnz .LBB1_103
; %bb.102:                              ;   in Loop: Header=BB1_31 Depth=1
	global_load_b32 v8, v[0:1], off offset:24
	s_waitcnt vmcnt(0)
	v_and_b32_e32 v0, 0xffffff, v8
	s_waitcnt_vscnt null, 0x0
	global_store_b64 v[2:3], v[8:9], off
	v_readfirstlane_b32 m0, v0
	s_sendmsg sendmsg(MSG_INTERRUPT)
.LBB1_103:                              ;   in Loop: Header=BB1_31 Depth=1
	s_or_b32 exec_lo, exec_lo, s1
	v_add_co_u32 v0, vcc_lo, v26, v34
	v_add_co_ci_u32_e32 v1, vcc_lo, 0, v27, vcc_lo
	s_branch .LBB1_107
	.p2align	6
.LBB1_104:                              ;   in Loop: Header=BB1_107 Depth=2
	s_or_b32 exec_lo, exec_lo, s1
	s_delay_alu instid0(VALU_DEP_1) | instskip(NEXT) | instid1(VALU_DEP_1)
	v_readfirstlane_b32 s1, v2
	s_cmp_eq_u32 s1, 0
	s_cbranch_scc1 .LBB1_106
; %bb.105:                              ;   in Loop: Header=BB1_107 Depth=2
	s_sleep 1
	s_cbranch_execnz .LBB1_107
	s_branch .LBB1_109
	.p2align	6
.LBB1_106:                              ;   in Loop: Header=BB1_31 Depth=1
	s_branch .LBB1_109
.LBB1_107:                              ;   Parent Loop BB1_31 Depth=1
                                        ; =>  This Inner Loop Header: Depth=2
	v_mov_b32_e32 v2, 1
	s_and_saveexec_b32 s1, s0
	s_cbranch_execz .LBB1_104
; %bb.108:                              ;   in Loop: Header=BB1_107 Depth=2
	global_load_b32 v2, v[32:33], off offset:20 glc
	s_waitcnt vmcnt(0)
	buffer_gl1_inv
	buffer_gl0_inv
	v_and_b32_e32 v2, 1, v2
	s_branch .LBB1_104
.LBB1_109:                              ;   in Loop: Header=BB1_31 Depth=1
	global_load_b128 v[0:3], v[0:1], off
	s_and_saveexec_b32 s1, s0
	s_cbranch_execz .LBB1_30
; %bb.110:                              ;   in Loop: Header=BB1_31 Depth=1
	s_clause 0x2
	global_load_b64 v[2:3], v9, s[2:3] offset:40
	global_load_b64 v[16:17], v9, s[2:3] offset:24 glc
	global_load_b64 v[14:15], v9, s[2:3]
	s_waitcnt vmcnt(2)
	v_add_co_u32 v8, vcc_lo, v2, 1
	v_add_co_ci_u32_e32 v18, vcc_lo, 0, v3, vcc_lo
	s_delay_alu instid0(VALU_DEP_2) | instskip(NEXT) | instid1(VALU_DEP_2)
	v_add_co_u32 v12, vcc_lo, v8, s4
	v_add_co_ci_u32_e32 v13, vcc_lo, s5, v18, vcc_lo
	s_delay_alu instid0(VALU_DEP_1) | instskip(SKIP_1) | instid1(VALU_DEP_1)
	v_cmp_eq_u64_e32 vcc_lo, 0, v[12:13]
	v_dual_cndmask_b32 v13, v13, v18 :: v_dual_cndmask_b32 v12, v12, v8
	v_and_b32_e32 v3, v13, v3
	s_delay_alu instid0(VALU_DEP_2) | instskip(NEXT) | instid1(VALU_DEP_1)
	v_and_b32_e32 v2, v12, v2
	v_mul_hi_u32 v8, v2, 24
	v_mul_lo_u32 v2, v2, 24
	s_waitcnt vmcnt(0)
	s_delay_alu instid0(VALU_DEP_1) | instskip(SKIP_2) | instid1(VALU_DEP_1)
	v_add_co_u32 v2, vcc_lo, v14, v2
	v_mov_b32_e32 v14, v16
	v_mul_lo_u32 v3, v3, 24
	v_add_nc_u32_e32 v3, v8, v3
	s_delay_alu instid0(VALU_DEP_1)
	v_add_co_ci_u32_e32 v3, vcc_lo, v15, v3, vcc_lo
	v_mov_b32_e32 v15, v17
	global_store_b64 v[2:3], v[16:17], off
	s_waitcnt_vscnt null, 0x0
	global_atomic_cmpswap_b64 v[14:15], v9, v[12:15], s[2:3] offset:24 glc
	s_waitcnt vmcnt(0)
	v_cmp_ne_u64_e32 vcc_lo, v[14:15], v[16:17]
	s_and_b32 exec_lo, exec_lo, vcc_lo
	s_cbranch_execz .LBB1_30
; %bb.111:                              ;   in Loop: Header=BB1_31 Depth=1
	s_mov_b32 s0, 0
.LBB1_112:                              ;   Parent Loop BB1_31 Depth=1
                                        ; =>  This Inner Loop Header: Depth=2
	s_sleep 1
	global_store_b64 v[2:3], v[14:15], off
	s_waitcnt_vscnt null, 0x0
	global_atomic_cmpswap_b64 v[16:17], v9, v[12:15], s[2:3] offset:24 glc
	s_waitcnt vmcnt(0)
	v_cmp_eq_u64_e32 vcc_lo, v[16:17], v[14:15]
	v_dual_mov_b32 v14, v16 :: v_dual_mov_b32 v15, v17
	s_or_b32 s0, vcc_lo, s0
	s_delay_alu instid0(SALU_CYCLE_1)
	s_and_not1_b32 exec_lo, exec_lo, s0
	s_cbranch_execnz .LBB1_112
	s_branch .LBB1_30
.LBB1_113:
                                        ; implicit-def: $vgpr0_vgpr1
	s_cbranch_execnz .LBB1_115
	s_branch .LBB1_142
.LBB1_114:
	s_or_b32 exec_lo, exec_lo, s10
	s_branch .LBB1_142
.LBB1_115:
	v_readfirstlane_b32 s0, v35
	v_mov_b32_e32 v9, 0
	v_mov_b32_e32 v10, 0
	s_delay_alu instid0(VALU_DEP_3) | instskip(NEXT) | instid1(VALU_DEP_1)
	v_cmp_eq_u32_e64 s0, s0, v35
	s_and_saveexec_b32 s1, s0
	s_cbranch_execz .LBB1_121
; %bb.116:
	s_waitcnt vmcnt(0)
	v_mov_b32_e32 v0, 0
	s_mov_b32 s4, exec_lo
	global_load_b64 v[11:12], v0, s[2:3] offset:24 glc
	s_waitcnt vmcnt(0)
	buffer_gl1_inv
	buffer_gl0_inv
	s_clause 0x1
	global_load_b64 v[1:2], v0, s[2:3] offset:40
	global_load_b64 v[8:9], v0, s[2:3]
	s_waitcnt vmcnt(1)
	v_and_b32_e32 v1, v1, v11
	v_and_b32_e32 v2, v2, v12
	s_delay_alu instid0(VALU_DEP_2) | instskip(NEXT) | instid1(VALU_DEP_2)
	v_mul_hi_u32 v3, v1, 24
	v_mul_lo_u32 v2, v2, 24
	v_mul_lo_u32 v1, v1, 24
	s_delay_alu instid0(VALU_DEP_2) | instskip(SKIP_1) | instid1(VALU_DEP_2)
	v_add_nc_u32_e32 v2, v3, v2
	s_waitcnt vmcnt(0)
	v_add_co_u32 v1, vcc_lo, v8, v1
	s_delay_alu instid0(VALU_DEP_2)
	v_add_co_ci_u32_e32 v2, vcc_lo, v9, v2, vcc_lo
	global_load_b64 v[9:10], v[1:2], off glc
	s_waitcnt vmcnt(0)
	global_atomic_cmpswap_b64 v[9:10], v0, v[9:12], s[2:3] offset:24 glc
	s_waitcnt vmcnt(0)
	buffer_gl1_inv
	buffer_gl0_inv
	v_cmpx_ne_u64_e64 v[9:10], v[11:12]
	s_cbranch_execz .LBB1_120
; %bb.117:
	s_mov_b32 s5, 0
	.p2align	6
.LBB1_118:                              ; =>This Inner Loop Header: Depth=1
	s_sleep 1
	s_clause 0x1
	global_load_b64 v[1:2], v0, s[2:3] offset:40
	global_load_b64 v[13:14], v0, s[2:3]
	v_dual_mov_b32 v12, v10 :: v_dual_mov_b32 v11, v9
	s_waitcnt vmcnt(1)
	s_delay_alu instid0(VALU_DEP_1) | instskip(SKIP_1) | instid1(VALU_DEP_1)
	v_and_b32_e32 v1, v1, v11
	s_waitcnt vmcnt(0)
	v_mad_u64_u32 v[8:9], null, v1, 24, v[13:14]
	s_delay_alu instid0(VALU_DEP_1) | instskip(NEXT) | instid1(VALU_DEP_1)
	v_dual_mov_b32 v1, v9 :: v_dual_and_b32 v10, v2, v12
	v_mad_u64_u32 v[2:3], null, v10, 24, v[1:2]
	s_delay_alu instid0(VALU_DEP_1)
	v_mov_b32_e32 v9, v2
	global_load_b64 v[9:10], v[8:9], off glc
	s_waitcnt vmcnt(0)
	global_atomic_cmpswap_b64 v[9:10], v0, v[9:12], s[2:3] offset:24 glc
	s_waitcnt vmcnt(0)
	buffer_gl1_inv
	buffer_gl0_inv
	v_cmp_eq_u64_e32 vcc_lo, v[9:10], v[11:12]
	s_or_b32 s5, vcc_lo, s5
	s_delay_alu instid0(SALU_CYCLE_1)
	s_and_not1_b32 exec_lo, exec_lo, s5
	s_cbranch_execnz .LBB1_118
; %bb.119:
	s_or_b32 exec_lo, exec_lo, s5
.LBB1_120:
	s_delay_alu instid0(SALU_CYCLE_1)
	s_or_b32 exec_lo, exec_lo, s4
.LBB1_121:
	s_delay_alu instid0(SALU_CYCLE_1)
	s_or_b32 exec_lo, exec_lo, s1
	v_mov_b32_e32 v8, 0
	v_readfirstlane_b32 s4, v9
	v_readfirstlane_b32 s5, v10
	s_mov_b32 s1, exec_lo
	s_clause 0x1
	global_load_b64 v[11:12], v8, s[2:3] offset:40
	global_load_b128 v[0:3], v8, s[2:3]
	s_waitcnt vmcnt(1)
	v_readfirstlane_b32 s6, v11
	v_readfirstlane_b32 s7, v12
	s_delay_alu instid0(VALU_DEP_1) | instskip(NEXT) | instid1(SALU_CYCLE_1)
	s_and_b64 s[6:7], s[4:5], s[6:7]
	s_mul_i32 s10, s7, 24
	s_mul_hi_u32 s11, s6, 24
	s_mul_i32 s12, s6, 24
	s_add_i32 s11, s11, s10
	s_waitcnt vmcnt(0)
	v_add_co_u32 v10, vcc_lo, v0, s12
	v_add_co_ci_u32_e32 v11, vcc_lo, s11, v1, vcc_lo
	s_and_saveexec_b32 s10, s0
	s_cbranch_execz .LBB1_123
; %bb.122:
	v_dual_mov_b32 v12, s1 :: v_dual_mov_b32 v13, v8
	v_dual_mov_b32 v14, 2 :: v_dual_mov_b32 v15, 1
	global_store_b128 v[10:11], v[12:15], off offset:8
.LBB1_123:
	s_or_b32 exec_lo, exec_lo, s10
	s_lshl_b64 s[6:7], s[6:7], 12
	s_mov_b32 s12, 0
	v_add_co_u32 v2, vcc_lo, v2, s6
	v_add_co_ci_u32_e32 v3, vcc_lo, s7, v3, vcc_lo
	s_mov_b32 s15, s12
	s_delay_alu instid0(VALU_DEP_2)
	v_add_co_u32 v12, vcc_lo, v2, v34
	s_mov_b32 s13, s12
	s_mov_b32 s14, s12
	v_and_or_b32 v6, 0xffffff1f, v6, 32
	v_mov_b32_e32 v9, v8
	v_readfirstlane_b32 s6, v2
	v_readfirstlane_b32 s7, v3
	v_dual_mov_b32 v17, s15 :: v_dual_mov_b32 v14, s12
	v_add_co_ci_u32_e32 v13, vcc_lo, 0, v3, vcc_lo
	v_dual_mov_b32 v16, s14 :: v_dual_mov_b32 v15, s13
	s_clause 0x3
	global_store_b128 v34, v[6:9], s[6:7]
	global_store_b128 v34, v[14:17], s[6:7] offset:16
	global_store_b128 v34, v[14:17], s[6:7] offset:32
	;; [unrolled: 1-line block ×3, first 2 shown]
	s_and_saveexec_b32 s1, s0
	s_cbranch_execz .LBB1_131
; %bb.124:
	v_dual_mov_b32 v8, 0 :: v_dual_mov_b32 v15, s5
	v_mov_b32_e32 v14, s4
	s_clause 0x1
	global_load_b64 v[16:17], v8, s[2:3] offset:32 glc
	global_load_b64 v[2:3], v8, s[2:3] offset:40
	s_waitcnt vmcnt(0)
	v_readfirstlane_b32 s6, v2
	v_readfirstlane_b32 s7, v3
	s_delay_alu instid0(VALU_DEP_1) | instskip(NEXT) | instid1(SALU_CYCLE_1)
	s_and_b64 s[6:7], s[6:7], s[4:5]
	s_mul_i32 s7, s7, 24
	s_mul_hi_u32 s10, s6, 24
	s_mul_i32 s6, s6, 24
	s_add_i32 s10, s10, s7
	v_add_co_u32 v6, vcc_lo, v0, s6
	v_add_co_ci_u32_e32 v7, vcc_lo, s10, v1, vcc_lo
	s_mov_b32 s6, exec_lo
	global_store_b64 v[6:7], v[16:17], off
	s_waitcnt_vscnt null, 0x0
	global_atomic_cmpswap_b64 v[2:3], v8, v[14:17], s[2:3] offset:32 glc
	s_waitcnt vmcnt(0)
	v_cmpx_ne_u64_e64 v[2:3], v[16:17]
	s_cbranch_execz .LBB1_127
; %bb.125:
	s_mov_b32 s7, 0
.LBB1_126:                              ; =>This Inner Loop Header: Depth=1
	v_dual_mov_b32 v0, s4 :: v_dual_mov_b32 v1, s5
	s_sleep 1
	global_store_b64 v[6:7], v[2:3], off
	s_waitcnt_vscnt null, 0x0
	global_atomic_cmpswap_b64 v[0:1], v8, v[0:3], s[2:3] offset:32 glc
	s_waitcnt vmcnt(0)
	v_cmp_eq_u64_e32 vcc_lo, v[0:1], v[2:3]
	v_dual_mov_b32 v3, v1 :: v_dual_mov_b32 v2, v0
	s_or_b32 s7, vcc_lo, s7
	s_delay_alu instid0(SALU_CYCLE_1)
	s_and_not1_b32 exec_lo, exec_lo, s7
	s_cbranch_execnz .LBB1_126
.LBB1_127:
	s_or_b32 exec_lo, exec_lo, s6
	v_mov_b32_e32 v3, 0
	s_mov_b32 s7, exec_lo
	s_mov_b32 s6, exec_lo
	v_mbcnt_lo_u32_b32 v2, s7, 0
	global_load_b64 v[0:1], v3, s[2:3] offset:16
	v_cmpx_eq_u32_e32 0, v2
	s_cbranch_execz .LBB1_129
; %bb.128:
	s_bcnt1_i32_b32 s7, s7
	s_delay_alu instid0(SALU_CYCLE_1)
	v_mov_b32_e32 v2, s7
	s_waitcnt vmcnt(0)
	global_atomic_add_u64 v[0:1], v[2:3], off offset:8
.LBB1_129:
	s_or_b32 exec_lo, exec_lo, s6
	s_waitcnt vmcnt(0)
	global_load_b64 v[2:3], v[0:1], off offset:16
	s_waitcnt vmcnt(0)
	v_cmp_eq_u64_e32 vcc_lo, 0, v[2:3]
	s_cbranch_vccnz .LBB1_131
; %bb.130:
	global_load_b32 v0, v[0:1], off offset:24
	s_waitcnt vmcnt(0)
	v_dual_mov_b32 v1, 0 :: v_dual_and_b32 v6, 0xffffff, v0
	s_waitcnt_vscnt null, 0x0
	global_store_b64 v[2:3], v[0:1], off
	v_readfirstlane_b32 m0, v6
	s_sendmsg sendmsg(MSG_INTERRUPT)
.LBB1_131:
	s_or_b32 exec_lo, exec_lo, s1
	s_branch .LBB1_135
	.p2align	6
.LBB1_132:                              ;   in Loop: Header=BB1_135 Depth=1
	s_or_b32 exec_lo, exec_lo, s1
	s_delay_alu instid0(VALU_DEP_1) | instskip(NEXT) | instid1(VALU_DEP_1)
	v_readfirstlane_b32 s1, v0
	s_cmp_eq_u32 s1, 0
	s_cbranch_scc1 .LBB1_134
; %bb.133:                              ;   in Loop: Header=BB1_135 Depth=1
	s_sleep 1
	s_cbranch_execnz .LBB1_135
	s_branch .LBB1_137
	.p2align	6
.LBB1_134:
	s_branch .LBB1_137
.LBB1_135:                              ; =>This Inner Loop Header: Depth=1
	v_mov_b32_e32 v0, 1
	s_and_saveexec_b32 s1, s0
	s_cbranch_execz .LBB1_132
; %bb.136:                              ;   in Loop: Header=BB1_135 Depth=1
	global_load_b32 v0, v[10:11], off offset:20 glc
	s_waitcnt vmcnt(0)
	buffer_gl1_inv
	buffer_gl0_inv
	v_and_b32_e32 v0, 1, v0
	s_branch .LBB1_132
.LBB1_137:
	global_load_b64 v[0:1], v[12:13], off
	s_and_saveexec_b32 s1, s0
	s_cbranch_execz .LBB1_141
; %bb.138:
	v_mov_b32_e32 v10, 0
	s_clause 0x2
	global_load_b64 v[2:3], v10, s[2:3] offset:40
	global_load_b64 v[11:12], v10, s[2:3] offset:24 glc
	global_load_b64 v[8:9], v10, s[2:3]
	s_waitcnt vmcnt(2)
	v_add_co_u32 v13, vcc_lo, v2, 1
	v_add_co_ci_u32_e32 v14, vcc_lo, 0, v3, vcc_lo
	s_delay_alu instid0(VALU_DEP_2) | instskip(NEXT) | instid1(VALU_DEP_2)
	v_add_co_u32 v6, vcc_lo, v13, s4
	v_add_co_ci_u32_e32 v7, vcc_lo, s5, v14, vcc_lo
	s_delay_alu instid0(VALU_DEP_1) | instskip(SKIP_1) | instid1(VALU_DEP_1)
	v_cmp_eq_u64_e32 vcc_lo, 0, v[6:7]
	v_dual_cndmask_b32 v7, v7, v14 :: v_dual_cndmask_b32 v6, v6, v13
	v_and_b32_e32 v3, v7, v3
	s_delay_alu instid0(VALU_DEP_2) | instskip(NEXT) | instid1(VALU_DEP_2)
	v_and_b32_e32 v2, v6, v2
	v_mul_lo_u32 v3, v3, 24
	s_delay_alu instid0(VALU_DEP_2) | instskip(SKIP_1) | instid1(VALU_DEP_2)
	v_mul_hi_u32 v13, v2, 24
	v_mul_lo_u32 v2, v2, 24
	v_add_nc_u32_e32 v3, v13, v3
	s_waitcnt vmcnt(0)
	s_delay_alu instid0(VALU_DEP_2) | instskip(SKIP_1) | instid1(VALU_DEP_3)
	v_add_co_u32 v2, vcc_lo, v8, v2
	v_mov_b32_e32 v8, v11
	v_add_co_ci_u32_e32 v3, vcc_lo, v9, v3, vcc_lo
	v_mov_b32_e32 v9, v12
	global_store_b64 v[2:3], v[11:12], off
	s_waitcnt_vscnt null, 0x0
	global_atomic_cmpswap_b64 v[8:9], v10, v[6:9], s[2:3] offset:24 glc
	s_waitcnt vmcnt(0)
	v_cmp_ne_u64_e32 vcc_lo, v[8:9], v[11:12]
	s_and_b32 exec_lo, exec_lo, vcc_lo
	s_cbranch_execz .LBB1_141
; %bb.139:
	s_mov_b32 s0, 0
.LBB1_140:                              ; =>This Inner Loop Header: Depth=1
	s_sleep 1
	global_store_b64 v[2:3], v[8:9], off
	s_waitcnt_vscnt null, 0x0
	global_atomic_cmpswap_b64 v[11:12], v10, v[6:9], s[2:3] offset:24 glc
	s_waitcnt vmcnt(0)
	v_cmp_eq_u64_e32 vcc_lo, v[11:12], v[8:9]
	v_dual_mov_b32 v8, v11 :: v_dual_mov_b32 v9, v12
	s_or_b32 s0, vcc_lo, s0
	s_delay_alu instid0(SALU_CYCLE_1)
	s_and_not1_b32 exec_lo, exec_lo, s0
	s_cbranch_execnz .LBB1_140
.LBB1_141:
	s_or_b32 exec_lo, exec_lo, s1
.LBB1_142:
	s_getpc_b64 s[4:5]
	s_add_u32 s4, s4, .str.2@rel32@lo+4
	s_addc_u32 s5, s5, .str.2@rel32@hi+12
	s_delay_alu instid0(SALU_CYCLE_1)
	s_cmp_lg_u64 s[4:5], 0
	s_cbranch_scc0 .LBB1_220
; %bb.143:
	s_getpc_b64 s[0:1]
	s_add_u32 s0, s0, .str.2@rel32@lo+80
	s_addc_u32 s1, s1, .str.2@rel32@hi+88
	s_waitcnt vmcnt(0)
	v_dual_mov_b32 v10, 0 :: v_dual_and_b32 v33, 2, v0
	v_dual_mov_b32 v7, v1 :: v_dual_and_b32 v6, -3, v0
	v_dual_mov_b32 v11, 2 :: v_dual_mov_b32 v12, 1
	s_sub_i32 s6, s0, s4
	s_delay_alu instid0(SALU_CYCLE_1)
	s_ashr_i32 s7, s6, 31
	s_branch .LBB1_145
.LBB1_144:                              ;   in Loop: Header=BB1_145 Depth=1
	s_or_b32 exec_lo, exec_lo, s1
	s_sub_u32 s6, s6, s10
	s_subb_u32 s7, s7, s11
	s_add_u32 s4, s4, s10
	s_addc_u32 s5, s5, s11
	s_cmp_lg_u64 s[6:7], 0
	s_cbranch_scc0 .LBB1_221
.LBB1_145:                              ; =>This Loop Header: Depth=1
                                        ;     Child Loop BB1_154 Depth 2
                                        ;     Child Loop BB1_150 Depth 2
                                        ;     Child Loop BB1_162 Depth 2
                                        ;     Child Loop BB1_169 Depth 2
                                        ;     Child Loop BB1_176 Depth 2
                                        ;     Child Loop BB1_183 Depth 2
                                        ;     Child Loop BB1_190 Depth 2
                                        ;     Child Loop BB1_197 Depth 2
                                        ;     Child Loop BB1_205 Depth 2
                                        ;     Child Loop BB1_214 Depth 2
                                        ;     Child Loop BB1_219 Depth 2
	v_cmp_lt_u64_e64 s0, s[6:7], 56
	v_cmp_gt_u64_e64 s1, s[6:7], 7
                                        ; implicit-def: $vgpr15_vgpr16
                                        ; implicit-def: $sgpr16
	s_delay_alu instid0(VALU_DEP_2) | instskip(SKIP_2) | instid1(VALU_DEP_1)
	s_and_b32 s0, s0, exec_lo
	s_cselect_b32 s11, s7, 0
	s_cselect_b32 s10, s6, 56
	s_and_b32 vcc_lo, exec_lo, s1
	s_mov_b32 s0, -1
	s_cbranch_vccz .LBB1_152
; %bb.146:                              ;   in Loop: Header=BB1_145 Depth=1
	s_and_not1_b32 vcc_lo, exec_lo, s0
	s_mov_b64 s[0:1], s[4:5]
	s_cbranch_vccz .LBB1_156
.LBB1_147:                              ;   in Loop: Header=BB1_145 Depth=1
	s_cmp_gt_u32 s16, 7
	s_cbranch_scc1 .LBB1_157
.LBB1_148:                              ;   in Loop: Header=BB1_145 Depth=1
	v_mov_b32_e32 v17, 0
	v_mov_b32_e32 v18, 0
	s_cmp_eq_u32 s16, 0
	s_cbranch_scc1 .LBB1_151
; %bb.149:                              ;   in Loop: Header=BB1_145 Depth=1
	s_mov_b64 s[12:13], 0
	s_mov_b64 s[14:15], 0
.LBB1_150:                              ;   Parent Loop BB1_145 Depth=1
                                        ; =>  This Inner Loop Header: Depth=2
	s_delay_alu instid0(SALU_CYCLE_1)
	s_add_u32 s18, s0, s14
	s_addc_u32 s19, s1, s15
	s_add_u32 s14, s14, 1
	global_load_u8 v2, v10, s[18:19]
	s_addc_u32 s15, s15, 0
	s_waitcnt vmcnt(0)
	v_and_b32_e32 v9, 0xffff, v2
	s_delay_alu instid0(VALU_DEP_1) | instskip(SKIP_3) | instid1(VALU_DEP_1)
	v_lshlrev_b64 v[2:3], s12, v[9:10]
	s_add_u32 s12, s12, 8
	s_addc_u32 s13, s13, 0
	s_cmp_lg_u32 s16, s14
	v_or_b32_e32 v17, v2, v17
	s_delay_alu instid0(VALU_DEP_2)
	v_or_b32_e32 v18, v3, v18
	s_cbranch_scc1 .LBB1_150
.LBB1_151:                              ;   in Loop: Header=BB1_145 Depth=1
	s_mov_b32 s17, 0
	s_cbranch_execz .LBB1_158
	s_branch .LBB1_159
.LBB1_152:                              ;   in Loop: Header=BB1_145 Depth=1
	v_mov_b32_e32 v15, 0
	v_mov_b32_e32 v16, 0
	s_cmp_eq_u64 s[6:7], 0
	s_mov_b64 s[0:1], 0
	s_cbranch_scc1 .LBB1_155
; %bb.153:                              ;   in Loop: Header=BB1_145 Depth=1
	v_mov_b32_e32 v15, 0
	v_mov_b32_e32 v16, 0
	s_lshl_b64 s[12:13], s[10:11], 3
	s_mov_b64 s[14:15], s[4:5]
.LBB1_154:                              ;   Parent Loop BB1_145 Depth=1
                                        ; =>  This Inner Loop Header: Depth=2
	global_load_u8 v2, v10, s[14:15]
	s_waitcnt vmcnt(0)
	v_and_b32_e32 v9, 0xffff, v2
	s_delay_alu instid0(VALU_DEP_1)
	v_lshlrev_b64 v[2:3], s0, v[9:10]
	s_add_u32 s0, s0, 8
	s_addc_u32 s1, s1, 0
	s_add_u32 s14, s14, 1
	s_addc_u32 s15, s15, 0
	s_cmp_lg_u32 s12, s0
	v_or_b32_e32 v15, v2, v15
	v_or_b32_e32 v16, v3, v16
	s_cbranch_scc1 .LBB1_154
.LBB1_155:                              ;   in Loop: Header=BB1_145 Depth=1
	s_mov_b32 s16, 0
	s_mov_b64 s[0:1], s[4:5]
	s_cbranch_execnz .LBB1_147
.LBB1_156:                              ;   in Loop: Header=BB1_145 Depth=1
	global_load_b64 v[15:16], v10, s[4:5]
	s_add_i32 s16, s10, -8
	s_add_u32 s0, s4, 8
	s_addc_u32 s1, s5, 0
	s_cmp_gt_u32 s16, 7
	s_cbranch_scc0 .LBB1_148
.LBB1_157:                              ;   in Loop: Header=BB1_145 Depth=1
                                        ; implicit-def: $vgpr17_vgpr18
                                        ; implicit-def: $sgpr17
.LBB1_158:                              ;   in Loop: Header=BB1_145 Depth=1
	global_load_b64 v[17:18], v10, s[0:1]
	s_add_i32 s17, s16, -8
	s_add_u32 s0, s0, 8
	s_addc_u32 s1, s1, 0
.LBB1_159:                              ;   in Loop: Header=BB1_145 Depth=1
	s_cmp_gt_u32 s17, 7
	s_cbranch_scc1 .LBB1_164
; %bb.160:                              ;   in Loop: Header=BB1_145 Depth=1
	v_mov_b32_e32 v19, 0
	v_mov_b32_e32 v20, 0
	s_cmp_eq_u32 s17, 0
	s_cbranch_scc1 .LBB1_163
; %bb.161:                              ;   in Loop: Header=BB1_145 Depth=1
	s_mov_b64 s[12:13], 0
	s_mov_b64 s[14:15], 0
.LBB1_162:                              ;   Parent Loop BB1_145 Depth=1
                                        ; =>  This Inner Loop Header: Depth=2
	s_delay_alu instid0(SALU_CYCLE_1)
	s_add_u32 s18, s0, s14
	s_addc_u32 s19, s1, s15
	s_add_u32 s14, s14, 1
	global_load_u8 v2, v10, s[18:19]
	s_addc_u32 s15, s15, 0
	s_waitcnt vmcnt(0)
	v_and_b32_e32 v9, 0xffff, v2
	s_delay_alu instid0(VALU_DEP_1) | instskip(SKIP_3) | instid1(VALU_DEP_1)
	v_lshlrev_b64 v[2:3], s12, v[9:10]
	s_add_u32 s12, s12, 8
	s_addc_u32 s13, s13, 0
	s_cmp_lg_u32 s17, s14
	v_or_b32_e32 v19, v2, v19
	s_delay_alu instid0(VALU_DEP_2)
	v_or_b32_e32 v20, v3, v20
	s_cbranch_scc1 .LBB1_162
.LBB1_163:                              ;   in Loop: Header=BB1_145 Depth=1
	s_mov_b32 s16, 0
	s_cbranch_execz .LBB1_165
	s_branch .LBB1_166
.LBB1_164:                              ;   in Loop: Header=BB1_145 Depth=1
                                        ; implicit-def: $sgpr16
.LBB1_165:                              ;   in Loop: Header=BB1_145 Depth=1
	global_load_b64 v[19:20], v10, s[0:1]
	s_add_i32 s16, s17, -8
	s_add_u32 s0, s0, 8
	s_addc_u32 s1, s1, 0
.LBB1_166:                              ;   in Loop: Header=BB1_145 Depth=1
	s_cmp_gt_u32 s16, 7
	s_cbranch_scc1 .LBB1_171
; %bb.167:                              ;   in Loop: Header=BB1_145 Depth=1
	v_mov_b32_e32 v21, 0
	v_mov_b32_e32 v22, 0
	s_cmp_eq_u32 s16, 0
	s_cbranch_scc1 .LBB1_170
; %bb.168:                              ;   in Loop: Header=BB1_145 Depth=1
	s_mov_b64 s[12:13], 0
	s_mov_b64 s[14:15], 0
.LBB1_169:                              ;   Parent Loop BB1_145 Depth=1
                                        ; =>  This Inner Loop Header: Depth=2
	s_delay_alu instid0(SALU_CYCLE_1)
	s_add_u32 s18, s0, s14
	s_addc_u32 s19, s1, s15
	s_add_u32 s14, s14, 1
	global_load_u8 v2, v10, s[18:19]
	s_addc_u32 s15, s15, 0
	s_waitcnt vmcnt(0)
	v_and_b32_e32 v9, 0xffff, v2
	s_delay_alu instid0(VALU_DEP_1) | instskip(SKIP_3) | instid1(VALU_DEP_1)
	v_lshlrev_b64 v[2:3], s12, v[9:10]
	s_add_u32 s12, s12, 8
	s_addc_u32 s13, s13, 0
	s_cmp_lg_u32 s16, s14
	v_or_b32_e32 v21, v2, v21
	s_delay_alu instid0(VALU_DEP_2)
	v_or_b32_e32 v22, v3, v22
	s_cbranch_scc1 .LBB1_169
.LBB1_170:                              ;   in Loop: Header=BB1_145 Depth=1
	s_mov_b32 s17, 0
	s_cbranch_execz .LBB1_172
	s_branch .LBB1_173
.LBB1_171:                              ;   in Loop: Header=BB1_145 Depth=1
                                        ; implicit-def: $vgpr21_vgpr22
                                        ; implicit-def: $sgpr17
.LBB1_172:                              ;   in Loop: Header=BB1_145 Depth=1
	global_load_b64 v[21:22], v10, s[0:1]
	s_add_i32 s17, s16, -8
	s_add_u32 s0, s0, 8
	s_addc_u32 s1, s1, 0
.LBB1_173:                              ;   in Loop: Header=BB1_145 Depth=1
	s_cmp_gt_u32 s17, 7
	s_cbranch_scc1 .LBB1_178
; %bb.174:                              ;   in Loop: Header=BB1_145 Depth=1
	v_mov_b32_e32 v23, 0
	v_mov_b32_e32 v24, 0
	s_cmp_eq_u32 s17, 0
	s_cbranch_scc1 .LBB1_177
; %bb.175:                              ;   in Loop: Header=BB1_145 Depth=1
	s_mov_b64 s[12:13], 0
	s_mov_b64 s[14:15], 0
.LBB1_176:                              ;   Parent Loop BB1_145 Depth=1
                                        ; =>  This Inner Loop Header: Depth=2
	s_delay_alu instid0(SALU_CYCLE_1)
	s_add_u32 s18, s0, s14
	s_addc_u32 s19, s1, s15
	s_add_u32 s14, s14, 1
	global_load_u8 v2, v10, s[18:19]
	s_addc_u32 s15, s15, 0
	s_waitcnt vmcnt(0)
	v_and_b32_e32 v9, 0xffff, v2
	s_delay_alu instid0(VALU_DEP_1) | instskip(SKIP_3) | instid1(VALU_DEP_1)
	v_lshlrev_b64 v[2:3], s12, v[9:10]
	s_add_u32 s12, s12, 8
	s_addc_u32 s13, s13, 0
	s_cmp_lg_u32 s17, s14
	v_or_b32_e32 v23, v2, v23
	s_delay_alu instid0(VALU_DEP_2)
	v_or_b32_e32 v24, v3, v24
	s_cbranch_scc1 .LBB1_176
.LBB1_177:                              ;   in Loop: Header=BB1_145 Depth=1
	s_mov_b32 s16, 0
	s_cbranch_execz .LBB1_179
	s_branch .LBB1_180
.LBB1_178:                              ;   in Loop: Header=BB1_145 Depth=1
                                        ; implicit-def: $sgpr16
.LBB1_179:                              ;   in Loop: Header=BB1_145 Depth=1
	global_load_b64 v[23:24], v10, s[0:1]
	s_add_i32 s16, s17, -8
	s_add_u32 s0, s0, 8
	s_addc_u32 s1, s1, 0
.LBB1_180:                              ;   in Loop: Header=BB1_145 Depth=1
	s_cmp_gt_u32 s16, 7
	s_cbranch_scc1 .LBB1_185
; %bb.181:                              ;   in Loop: Header=BB1_145 Depth=1
	v_mov_b32_e32 v25, 0
	v_mov_b32_e32 v26, 0
	s_cmp_eq_u32 s16, 0
	s_cbranch_scc1 .LBB1_184
; %bb.182:                              ;   in Loop: Header=BB1_145 Depth=1
	s_mov_b64 s[12:13], 0
	s_mov_b64 s[14:15], 0
.LBB1_183:                              ;   Parent Loop BB1_145 Depth=1
                                        ; =>  This Inner Loop Header: Depth=2
	s_delay_alu instid0(SALU_CYCLE_1)
	s_add_u32 s18, s0, s14
	s_addc_u32 s19, s1, s15
	s_add_u32 s14, s14, 1
	global_load_u8 v2, v10, s[18:19]
	s_addc_u32 s15, s15, 0
	s_waitcnt vmcnt(0)
	v_and_b32_e32 v9, 0xffff, v2
	s_delay_alu instid0(VALU_DEP_1) | instskip(SKIP_3) | instid1(VALU_DEP_1)
	v_lshlrev_b64 v[2:3], s12, v[9:10]
	s_add_u32 s12, s12, 8
	s_addc_u32 s13, s13, 0
	s_cmp_lg_u32 s16, s14
	v_or_b32_e32 v25, v2, v25
	s_delay_alu instid0(VALU_DEP_2)
	v_or_b32_e32 v26, v3, v26
	s_cbranch_scc1 .LBB1_183
.LBB1_184:                              ;   in Loop: Header=BB1_145 Depth=1
	s_mov_b32 s17, 0
	s_cbranch_execz .LBB1_186
	s_branch .LBB1_187
.LBB1_185:                              ;   in Loop: Header=BB1_145 Depth=1
                                        ; implicit-def: $vgpr25_vgpr26
                                        ; implicit-def: $sgpr17
.LBB1_186:                              ;   in Loop: Header=BB1_145 Depth=1
	global_load_b64 v[25:26], v10, s[0:1]
	s_add_i32 s17, s16, -8
	s_add_u32 s0, s0, 8
	s_addc_u32 s1, s1, 0
.LBB1_187:                              ;   in Loop: Header=BB1_145 Depth=1
	s_cmp_gt_u32 s17, 7
	s_cbranch_scc1 .LBB1_192
; %bb.188:                              ;   in Loop: Header=BB1_145 Depth=1
	v_mov_b32_e32 v27, 0
	v_mov_b32_e32 v28, 0
	s_cmp_eq_u32 s17, 0
	s_cbranch_scc1 .LBB1_191
; %bb.189:                              ;   in Loop: Header=BB1_145 Depth=1
	s_mov_b64 s[12:13], 0
	s_mov_b64 s[14:15], s[0:1]
.LBB1_190:                              ;   Parent Loop BB1_145 Depth=1
                                        ; =>  This Inner Loop Header: Depth=2
	global_load_u8 v2, v10, s[14:15]
	s_add_i32 s17, s17, -1
	s_waitcnt vmcnt(0)
	v_and_b32_e32 v9, 0xffff, v2
	s_delay_alu instid0(VALU_DEP_1)
	v_lshlrev_b64 v[2:3], s12, v[9:10]
	s_add_u32 s12, s12, 8
	s_addc_u32 s13, s13, 0
	s_add_u32 s14, s14, 1
	s_addc_u32 s15, s15, 0
	s_cmp_lg_u32 s17, 0
	v_or_b32_e32 v27, v2, v27
	v_or_b32_e32 v28, v3, v28
	s_cbranch_scc1 .LBB1_190
.LBB1_191:                              ;   in Loop: Header=BB1_145 Depth=1
	s_cbranch_execz .LBB1_193
	s_branch .LBB1_194
.LBB1_192:                              ;   in Loop: Header=BB1_145 Depth=1
.LBB1_193:                              ;   in Loop: Header=BB1_145 Depth=1
	global_load_b64 v[27:28], v10, s[0:1]
.LBB1_194:                              ;   in Loop: Header=BB1_145 Depth=1
	v_readfirstlane_b32 s0, v35
	v_mov_b32_e32 v2, 0
	v_mov_b32_e32 v3, 0
	s_delay_alu instid0(VALU_DEP_3) | instskip(NEXT) | instid1(VALU_DEP_1)
	v_cmp_eq_u32_e64 s0, s0, v35
	s_and_saveexec_b32 s1, s0
	s_cbranch_execz .LBB1_200
; %bb.195:                              ;   in Loop: Header=BB1_145 Depth=1
	global_load_b64 v[31:32], v10, s[2:3] offset:24 glc
	s_waitcnt vmcnt(0)
	buffer_gl1_inv
	buffer_gl0_inv
	s_clause 0x1
	global_load_b64 v[2:3], v10, s[2:3] offset:40
	global_load_b64 v[8:9], v10, s[2:3]
	s_mov_b32 s12, exec_lo
	s_waitcnt vmcnt(1)
	v_and_b32_e32 v3, v3, v32
	v_and_b32_e32 v2, v2, v31
	s_delay_alu instid0(VALU_DEP_2) | instskip(NEXT) | instid1(VALU_DEP_2)
	v_mul_lo_u32 v3, v3, 24
	v_mul_hi_u32 v13, v2, 24
	v_mul_lo_u32 v2, v2, 24
	s_delay_alu instid0(VALU_DEP_2) | instskip(SKIP_1) | instid1(VALU_DEP_2)
	v_add_nc_u32_e32 v3, v13, v3
	s_waitcnt vmcnt(0)
	v_add_co_u32 v2, vcc_lo, v8, v2
	s_delay_alu instid0(VALU_DEP_2)
	v_add_co_ci_u32_e32 v3, vcc_lo, v9, v3, vcc_lo
	global_load_b64 v[29:30], v[2:3], off glc
	s_waitcnt vmcnt(0)
	global_atomic_cmpswap_b64 v[2:3], v10, v[29:32], s[2:3] offset:24 glc
	s_waitcnt vmcnt(0)
	buffer_gl1_inv
	buffer_gl0_inv
	v_cmpx_ne_u64_e64 v[2:3], v[31:32]
	s_cbranch_execz .LBB1_199
; %bb.196:                              ;   in Loop: Header=BB1_145 Depth=1
	s_mov_b32 s13, 0
	.p2align	6
.LBB1_197:                              ;   Parent Loop BB1_145 Depth=1
                                        ; =>  This Inner Loop Header: Depth=2
	s_sleep 1
	s_clause 0x1
	global_load_b64 v[8:9], v10, s[2:3] offset:40
	global_load_b64 v[13:14], v10, s[2:3]
	v_dual_mov_b32 v32, v3 :: v_dual_mov_b32 v31, v2
	s_waitcnt vmcnt(1)
	s_delay_alu instid0(VALU_DEP_1) | instskip(SKIP_1) | instid1(VALU_DEP_1)
	v_and_b32_e32 v8, v8, v31
	s_waitcnt vmcnt(0)
	v_mad_u64_u32 v[2:3], null, v8, 24, v[13:14]
	v_and_b32_e32 v13, v9, v32
	s_delay_alu instid0(VALU_DEP_1) | instskip(NEXT) | instid1(VALU_DEP_1)
	v_mad_u64_u32 v[8:9], null, v13, 24, v[3:4]
	v_mov_b32_e32 v3, v8
	global_load_b64 v[29:30], v[2:3], off glc
	s_waitcnt vmcnt(0)
	global_atomic_cmpswap_b64 v[2:3], v10, v[29:32], s[2:3] offset:24 glc
	s_waitcnt vmcnt(0)
	buffer_gl1_inv
	buffer_gl0_inv
	v_cmp_eq_u64_e32 vcc_lo, v[2:3], v[31:32]
	s_or_b32 s13, vcc_lo, s13
	s_delay_alu instid0(SALU_CYCLE_1)
	s_and_not1_b32 exec_lo, exec_lo, s13
	s_cbranch_execnz .LBB1_197
; %bb.198:                              ;   in Loop: Header=BB1_145 Depth=1
	s_or_b32 exec_lo, exec_lo, s13
.LBB1_199:                              ;   in Loop: Header=BB1_145 Depth=1
	s_delay_alu instid0(SALU_CYCLE_1)
	s_or_b32 exec_lo, exec_lo, s12
.LBB1_200:                              ;   in Loop: Header=BB1_145 Depth=1
	s_delay_alu instid0(SALU_CYCLE_1)
	s_or_b32 exec_lo, exec_lo, s1
	s_clause 0x1
	global_load_b64 v[8:9], v10, s[2:3] offset:40
	global_load_b128 v[29:32], v10, s[2:3]
	v_readfirstlane_b32 s12, v2
	v_readfirstlane_b32 s13, v3
	s_mov_b32 s1, exec_lo
	s_waitcnt vmcnt(1)
	v_readfirstlane_b32 s14, v8
	v_readfirstlane_b32 s15, v9
	s_delay_alu instid0(VALU_DEP_1) | instskip(NEXT) | instid1(SALU_CYCLE_1)
	s_and_b64 s[14:15], s[12:13], s[14:15]
	s_mul_i32 s16, s15, 24
	s_mul_hi_u32 s17, s14, 24
	s_mul_i32 s18, s14, 24
	s_add_i32 s17, s17, s16
	s_waitcnt vmcnt(0)
	v_add_co_u32 v2, vcc_lo, v29, s18
	v_add_co_ci_u32_e32 v3, vcc_lo, s17, v30, vcc_lo
	s_and_saveexec_b32 s16, s0
	s_cbranch_execz .LBB1_202
; %bb.201:                              ;   in Loop: Header=BB1_145 Depth=1
	v_mov_b32_e32 v9, s1
	global_store_b128 v[2:3], v[9:12], off offset:8
.LBB1_202:                              ;   in Loop: Header=BB1_145 Depth=1
	s_or_b32 exec_lo, exec_lo, s16
	s_lshl_b64 s[14:15], s[14:15], 12
	v_cmp_gt_u64_e64 vcc_lo, s[6:7], 56
	v_or_b32_e32 v9, v6, v33
	v_add_co_u32 v31, s1, v31, s14
	s_delay_alu instid0(VALU_DEP_1)
	v_add_co_ci_u32_e64 v32, s1, s15, v32, s1
	s_lshl_b32 s1, s10, 2
	v_or_b32_e32 v8, 0, v7
	v_cndmask_b32_e32 v6, v9, v6, vcc_lo
	s_add_i32 s1, s1, 28
	v_readfirstlane_b32 s14, v31
	s_and_b32 s1, s1, 0x1e0
	v_cndmask_b32_e32 v14, v8, v7, vcc_lo
	v_readfirstlane_b32 s15, v32
	v_and_or_b32 v13, 0xffffff1f, v6, s1
	s_clause 0x3
	global_store_b128 v34, v[13:16], s[14:15]
	global_store_b128 v34, v[17:20], s[14:15] offset:16
	global_store_b128 v34, v[21:24], s[14:15] offset:32
	;; [unrolled: 1-line block ×3, first 2 shown]
	s_and_saveexec_b32 s1, s0
	s_cbranch_execz .LBB1_210
; %bb.203:                              ;   in Loop: Header=BB1_145 Depth=1
	s_clause 0x1
	global_load_b64 v[17:18], v10, s[2:3] offset:32 glc
	global_load_b64 v[6:7], v10, s[2:3] offset:40
	v_dual_mov_b32 v15, s12 :: v_dual_mov_b32 v16, s13
	s_waitcnt vmcnt(0)
	v_readfirstlane_b32 s14, v6
	v_readfirstlane_b32 s15, v7
	s_delay_alu instid0(VALU_DEP_1) | instskip(NEXT) | instid1(SALU_CYCLE_1)
	s_and_b64 s[14:15], s[14:15], s[12:13]
	s_mul_i32 s15, s15, 24
	s_mul_hi_u32 s16, s14, 24
	s_mul_i32 s14, s14, 24
	s_add_i32 s16, s16, s15
	v_add_co_u32 v13, vcc_lo, v29, s14
	v_add_co_ci_u32_e32 v14, vcc_lo, s16, v30, vcc_lo
	s_mov_b32 s14, exec_lo
	global_store_b64 v[13:14], v[17:18], off
	s_waitcnt_vscnt null, 0x0
	global_atomic_cmpswap_b64 v[8:9], v10, v[15:18], s[2:3] offset:32 glc
	s_waitcnt vmcnt(0)
	v_cmpx_ne_u64_e64 v[8:9], v[17:18]
	s_cbranch_execz .LBB1_206
; %bb.204:                              ;   in Loop: Header=BB1_145 Depth=1
	s_mov_b32 s15, 0
.LBB1_205:                              ;   Parent Loop BB1_145 Depth=1
                                        ; =>  This Inner Loop Header: Depth=2
	v_dual_mov_b32 v6, s12 :: v_dual_mov_b32 v7, s13
	s_sleep 1
	global_store_b64 v[13:14], v[8:9], off
	s_waitcnt_vscnt null, 0x0
	global_atomic_cmpswap_b64 v[6:7], v10, v[6:9], s[2:3] offset:32 glc
	s_waitcnt vmcnt(0)
	v_cmp_eq_u64_e32 vcc_lo, v[6:7], v[8:9]
	v_dual_mov_b32 v9, v7 :: v_dual_mov_b32 v8, v6
	s_or_b32 s15, vcc_lo, s15
	s_delay_alu instid0(SALU_CYCLE_1)
	s_and_not1_b32 exec_lo, exec_lo, s15
	s_cbranch_execnz .LBB1_205
.LBB1_206:                              ;   in Loop: Header=BB1_145 Depth=1
	s_or_b32 exec_lo, exec_lo, s14
	global_load_b64 v[6:7], v10, s[2:3] offset:16
	s_mov_b32 s15, exec_lo
	s_mov_b32 s14, exec_lo
	v_mbcnt_lo_u32_b32 v8, s15, 0
	s_delay_alu instid0(VALU_DEP_1)
	v_cmpx_eq_u32_e32 0, v8
	s_cbranch_execz .LBB1_208
; %bb.207:                              ;   in Loop: Header=BB1_145 Depth=1
	s_bcnt1_i32_b32 s15, s15
	s_delay_alu instid0(SALU_CYCLE_1)
	v_mov_b32_e32 v9, s15
	s_waitcnt vmcnt(0)
	global_atomic_add_u64 v[6:7], v[9:10], off offset:8
.LBB1_208:                              ;   in Loop: Header=BB1_145 Depth=1
	s_or_b32 exec_lo, exec_lo, s14
	s_waitcnt vmcnt(0)
	global_load_b64 v[13:14], v[6:7], off offset:16
	s_waitcnt vmcnt(0)
	v_cmp_eq_u64_e32 vcc_lo, 0, v[13:14]
	s_cbranch_vccnz .LBB1_210
; %bb.209:                              ;   in Loop: Header=BB1_145 Depth=1
	global_load_b32 v9, v[6:7], off offset:24
	s_waitcnt vmcnt(0)
	v_and_b32_e32 v6, 0xffffff, v9
	s_waitcnt_vscnt null, 0x0
	global_store_b64 v[13:14], v[9:10], off
	v_readfirstlane_b32 m0, v6
	s_sendmsg sendmsg(MSG_INTERRUPT)
.LBB1_210:                              ;   in Loop: Header=BB1_145 Depth=1
	s_or_b32 exec_lo, exec_lo, s1
	v_add_co_u32 v6, vcc_lo, v31, v34
	v_add_co_ci_u32_e32 v7, vcc_lo, 0, v32, vcc_lo
	s_branch .LBB1_214
	.p2align	6
.LBB1_211:                              ;   in Loop: Header=BB1_214 Depth=2
	s_or_b32 exec_lo, exec_lo, s1
	s_delay_alu instid0(VALU_DEP_1) | instskip(NEXT) | instid1(VALU_DEP_1)
	v_readfirstlane_b32 s1, v8
	s_cmp_eq_u32 s1, 0
	s_cbranch_scc1 .LBB1_213
; %bb.212:                              ;   in Loop: Header=BB1_214 Depth=2
	s_sleep 1
	s_cbranch_execnz .LBB1_214
	s_branch .LBB1_216
	.p2align	6
.LBB1_213:                              ;   in Loop: Header=BB1_145 Depth=1
	s_branch .LBB1_216
.LBB1_214:                              ;   Parent Loop BB1_145 Depth=1
                                        ; =>  This Inner Loop Header: Depth=2
	v_mov_b32_e32 v8, 1
	s_and_saveexec_b32 s1, s0
	s_cbranch_execz .LBB1_211
; %bb.215:                              ;   in Loop: Header=BB1_214 Depth=2
	global_load_b32 v8, v[2:3], off offset:20 glc
	s_waitcnt vmcnt(0)
	buffer_gl1_inv
	buffer_gl0_inv
	v_and_b32_e32 v8, 1, v8
	s_branch .LBB1_211
.LBB1_216:                              ;   in Loop: Header=BB1_145 Depth=1
	global_load_b128 v[6:9], v[6:7], off
	s_and_saveexec_b32 s1, s0
	s_cbranch_execz .LBB1_144
; %bb.217:                              ;   in Loop: Header=BB1_145 Depth=1
	s_clause 0x2
	global_load_b64 v[2:3], v10, s[2:3] offset:40
	global_load_b64 v[8:9], v10, s[2:3] offset:24 glc
	global_load_b64 v[15:16], v10, s[2:3]
	s_waitcnt vmcnt(2)
	v_add_co_u32 v17, vcc_lo, v2, 1
	v_add_co_ci_u32_e32 v18, vcc_lo, 0, v3, vcc_lo
	s_delay_alu instid0(VALU_DEP_2) | instskip(NEXT) | instid1(VALU_DEP_2)
	v_add_co_u32 v13, vcc_lo, v17, s12
	v_add_co_ci_u32_e32 v14, vcc_lo, s13, v18, vcc_lo
	s_delay_alu instid0(VALU_DEP_1) | instskip(SKIP_1) | instid1(VALU_DEP_1)
	v_cmp_eq_u64_e32 vcc_lo, 0, v[13:14]
	v_dual_cndmask_b32 v14, v14, v18 :: v_dual_cndmask_b32 v13, v13, v17
	v_and_b32_e32 v3, v14, v3
	s_delay_alu instid0(VALU_DEP_2) | instskip(NEXT) | instid1(VALU_DEP_2)
	v_and_b32_e32 v2, v13, v2
	v_mul_lo_u32 v3, v3, 24
	s_delay_alu instid0(VALU_DEP_2) | instskip(SKIP_1) | instid1(VALU_DEP_2)
	v_mul_hi_u32 v17, v2, 24
	v_mul_lo_u32 v2, v2, 24
	v_add_nc_u32_e32 v3, v17, v3
	s_waitcnt vmcnt(0)
	s_delay_alu instid0(VALU_DEP_2) | instskip(SKIP_1) | instid1(VALU_DEP_3)
	v_add_co_u32 v2, vcc_lo, v15, v2
	v_mov_b32_e32 v15, v8
	v_add_co_ci_u32_e32 v3, vcc_lo, v16, v3, vcc_lo
	v_mov_b32_e32 v16, v9
	global_store_b64 v[2:3], v[8:9], off
	s_waitcnt_vscnt null, 0x0
	global_atomic_cmpswap_b64 v[15:16], v10, v[13:16], s[2:3] offset:24 glc
	s_waitcnt vmcnt(0)
	v_cmp_ne_u64_e32 vcc_lo, v[15:16], v[8:9]
	s_and_b32 exec_lo, exec_lo, vcc_lo
	s_cbranch_execz .LBB1_144
; %bb.218:                              ;   in Loop: Header=BB1_145 Depth=1
	s_mov_b32 s0, 0
.LBB1_219:                              ;   Parent Loop BB1_145 Depth=1
                                        ; =>  This Inner Loop Header: Depth=2
	s_sleep 1
	global_store_b64 v[2:3], v[15:16], off
	s_waitcnt_vscnt null, 0x0
	global_atomic_cmpswap_b64 v[8:9], v10, v[13:16], s[2:3] offset:24 glc
	s_waitcnt vmcnt(0)
	v_cmp_eq_u64_e32 vcc_lo, v[8:9], v[15:16]
	v_dual_mov_b32 v16, v9 :: v_dual_mov_b32 v15, v8
	s_or_b32 s0, vcc_lo, s0
	s_delay_alu instid0(SALU_CYCLE_1)
	s_and_not1_b32 exec_lo, exec_lo, s0
	s_cbranch_execnz .LBB1_219
	s_branch .LBB1_144
.LBB1_220:
                                        ; implicit-def: $vgpr6_vgpr7
	s_cbranch_execnz .LBB1_222
	s_branch .LBB1_249
.LBB1_221:
	s_branch .LBB1_249
.LBB1_222:
	v_readfirstlane_b32 s0, v35
	v_mov_b32_e32 v10, 0
	v_mov_b32_e32 v11, 0
	s_delay_alu instid0(VALU_DEP_3) | instskip(NEXT) | instid1(VALU_DEP_1)
	v_cmp_eq_u32_e64 s0, s0, v35
	s_and_saveexec_b32 s1, s0
	s_cbranch_execz .LBB1_228
; %bb.223:
	s_waitcnt vmcnt(0)
	v_mov_b32_e32 v2, 0
	s_mov_b32 s4, exec_lo
	global_load_b64 v[8:9], v2, s[2:3] offset:24 glc
	s_waitcnt vmcnt(0)
	buffer_gl1_inv
	buffer_gl0_inv
	s_clause 0x1
	global_load_b64 v[6:7], v2, s[2:3] offset:40
	global_load_b64 v[10:11], v2, s[2:3]
	s_waitcnt vmcnt(1)
	v_and_b32_e32 v3, v7, v9
	v_and_b32_e32 v6, v6, v8
	s_delay_alu instid0(VALU_DEP_2) | instskip(NEXT) | instid1(VALU_DEP_2)
	v_mul_lo_u32 v3, v3, 24
	v_mul_hi_u32 v7, v6, 24
	v_mul_lo_u32 v6, v6, 24
	s_delay_alu instid0(VALU_DEP_2) | instskip(SKIP_1) | instid1(VALU_DEP_2)
	v_add_nc_u32_e32 v3, v7, v3
	s_waitcnt vmcnt(0)
	v_add_co_u32 v6, vcc_lo, v10, v6
	s_delay_alu instid0(VALU_DEP_2)
	v_add_co_ci_u32_e32 v7, vcc_lo, v11, v3, vcc_lo
	global_load_b64 v[6:7], v[6:7], off glc
	s_waitcnt vmcnt(0)
	global_atomic_cmpswap_b64 v[10:11], v2, v[6:9], s[2:3] offset:24 glc
	s_waitcnt vmcnt(0)
	buffer_gl1_inv
	buffer_gl0_inv
	v_cmpx_ne_u64_e64 v[10:11], v[8:9]
	s_cbranch_execz .LBB1_227
; %bb.224:
	s_mov_b32 s5, 0
	.p2align	6
.LBB1_225:                              ; =>This Inner Loop Header: Depth=1
	s_sleep 1
	s_clause 0x1
	global_load_b64 v[6:7], v2, s[2:3] offset:40
	global_load_b64 v[12:13], v2, s[2:3]
	v_dual_mov_b32 v8, v10 :: v_dual_mov_b32 v9, v11
	s_waitcnt vmcnt(1)
	s_delay_alu instid0(VALU_DEP_1) | instskip(SKIP_1) | instid1(VALU_DEP_1)
	v_and_b32_e32 v3, v6, v8
	s_waitcnt vmcnt(0)
	v_mad_u64_u32 v[10:11], null, v3, 24, v[12:13]
	v_and_b32_e32 v12, v7, v9
	s_delay_alu instid0(VALU_DEP_2) | instskip(NEXT) | instid1(VALU_DEP_1)
	v_mov_b32_e32 v3, v11
	v_mad_u64_u32 v[6:7], null, v12, 24, v[3:4]
	s_delay_alu instid0(VALU_DEP_1)
	v_mov_b32_e32 v11, v6
	global_load_b64 v[6:7], v[10:11], off glc
	s_waitcnt vmcnt(0)
	global_atomic_cmpswap_b64 v[10:11], v2, v[6:9], s[2:3] offset:24 glc
	s_waitcnt vmcnt(0)
	buffer_gl1_inv
	buffer_gl0_inv
	v_cmp_eq_u64_e32 vcc_lo, v[10:11], v[8:9]
	s_or_b32 s5, vcc_lo, s5
	s_delay_alu instid0(SALU_CYCLE_1)
	s_and_not1_b32 exec_lo, exec_lo, s5
	s_cbranch_execnz .LBB1_225
; %bb.226:
	s_or_b32 exec_lo, exec_lo, s5
.LBB1_227:
	s_delay_alu instid0(SALU_CYCLE_1)
	s_or_b32 exec_lo, exec_lo, s4
.LBB1_228:
	s_delay_alu instid0(SALU_CYCLE_1)
	s_or_b32 exec_lo, exec_lo, s1
	s_waitcnt vmcnt(0)
	v_mov_b32_e32 v2, 0
	v_readfirstlane_b32 s4, v10
	v_readfirstlane_b32 s5, v11
	s_mov_b32 s1, exec_lo
	s_clause 0x1
	global_load_b64 v[12:13], v2, s[2:3] offset:40
	global_load_b128 v[6:9], v2, s[2:3]
	s_waitcnt vmcnt(1)
	v_readfirstlane_b32 s6, v12
	v_readfirstlane_b32 s7, v13
	s_delay_alu instid0(VALU_DEP_1) | instskip(NEXT) | instid1(SALU_CYCLE_1)
	s_and_b64 s[6:7], s[4:5], s[6:7]
	s_mul_i32 s10, s7, 24
	s_mul_hi_u32 s11, s6, 24
	s_mul_i32 s12, s6, 24
	s_add_i32 s11, s11, s10
	s_waitcnt vmcnt(0)
	v_add_co_u32 v10, vcc_lo, v6, s12
	v_add_co_ci_u32_e32 v11, vcc_lo, s11, v7, vcc_lo
	s_and_saveexec_b32 s10, s0
	s_cbranch_execz .LBB1_230
; %bb.229:
	v_dual_mov_b32 v12, s1 :: v_dual_mov_b32 v13, v2
	v_dual_mov_b32 v14, 2 :: v_dual_mov_b32 v15, 1
	global_store_b128 v[10:11], v[12:15], off offset:8
.LBB1_230:
	s_or_b32 exec_lo, exec_lo, s10
	s_lshl_b64 s[6:7], s[6:7], 12
	s_mov_b32 s12, 0
	v_add_co_u32 v8, vcc_lo, v8, s6
	v_add_co_ci_u32_e32 v9, vcc_lo, s7, v9, vcc_lo
	s_mov_b32 s13, s12
	s_delay_alu instid0(VALU_DEP_2)
	v_readfirstlane_b32 s6, v8
	v_add_co_u32 v8, vcc_lo, v8, v34
	s_mov_b32 s14, s12
	s_mov_b32 s15, s12
	v_and_or_b32 v0, 0xffffff1f, v0, 32
	v_dual_mov_b32 v3, v2 :: v_dual_mov_b32 v12, s12
	v_readfirstlane_b32 s7, v9
	v_add_co_ci_u32_e32 v9, vcc_lo, 0, v9, vcc_lo
	v_dual_mov_b32 v13, s13 :: v_dual_mov_b32 v14, s14
	v_mov_b32_e32 v15, s15
	s_clause 0x3
	global_store_b128 v34, v[0:3], s[6:7]
	global_store_b128 v34, v[12:15], s[6:7] offset:16
	global_store_b128 v34, v[12:15], s[6:7] offset:32
	;; [unrolled: 1-line block ×3, first 2 shown]
	s_and_saveexec_b32 s1, s0
	s_cbranch_execz .LBB1_238
; %bb.231:
	v_dual_mov_b32 v12, 0 :: v_dual_mov_b32 v13, s4
	v_mov_b32_e32 v14, s5
	s_clause 0x1
	global_load_b64 v[15:16], v12, s[2:3] offset:32 glc
	global_load_b64 v[0:1], v12, s[2:3] offset:40
	s_waitcnt vmcnt(0)
	v_readfirstlane_b32 s6, v0
	v_readfirstlane_b32 s7, v1
	s_delay_alu instid0(VALU_DEP_1) | instskip(NEXT) | instid1(SALU_CYCLE_1)
	s_and_b64 s[6:7], s[6:7], s[4:5]
	s_mul_i32 s7, s7, 24
	s_mul_hi_u32 s10, s6, 24
	s_mul_i32 s6, s6, 24
	s_add_i32 s10, s10, s7
	v_add_co_u32 v6, vcc_lo, v6, s6
	v_add_co_ci_u32_e32 v7, vcc_lo, s10, v7, vcc_lo
	s_mov_b32 s6, exec_lo
	global_store_b64 v[6:7], v[15:16], off
	s_waitcnt_vscnt null, 0x0
	global_atomic_cmpswap_b64 v[2:3], v12, v[13:16], s[2:3] offset:32 glc
	s_waitcnt vmcnt(0)
	v_cmpx_ne_u64_e64 v[2:3], v[15:16]
	s_cbranch_execz .LBB1_234
; %bb.232:
	s_mov_b32 s7, 0
.LBB1_233:                              ; =>This Inner Loop Header: Depth=1
	v_dual_mov_b32 v0, s4 :: v_dual_mov_b32 v1, s5
	s_sleep 1
	global_store_b64 v[6:7], v[2:3], off
	s_waitcnt_vscnt null, 0x0
	global_atomic_cmpswap_b64 v[0:1], v12, v[0:3], s[2:3] offset:32 glc
	s_waitcnt vmcnt(0)
	v_cmp_eq_u64_e32 vcc_lo, v[0:1], v[2:3]
	v_dual_mov_b32 v3, v1 :: v_dual_mov_b32 v2, v0
	s_or_b32 s7, vcc_lo, s7
	s_delay_alu instid0(SALU_CYCLE_1)
	s_and_not1_b32 exec_lo, exec_lo, s7
	s_cbranch_execnz .LBB1_233
.LBB1_234:
	s_or_b32 exec_lo, exec_lo, s6
	v_mov_b32_e32 v3, 0
	s_mov_b32 s7, exec_lo
	s_mov_b32 s6, exec_lo
	v_mbcnt_lo_u32_b32 v2, s7, 0
	global_load_b64 v[0:1], v3, s[2:3] offset:16
	v_cmpx_eq_u32_e32 0, v2
	s_cbranch_execz .LBB1_236
; %bb.235:
	s_bcnt1_i32_b32 s7, s7
	s_delay_alu instid0(SALU_CYCLE_1)
	v_mov_b32_e32 v2, s7
	s_waitcnt vmcnt(0)
	global_atomic_add_u64 v[0:1], v[2:3], off offset:8
.LBB1_236:
	s_or_b32 exec_lo, exec_lo, s6
	s_waitcnt vmcnt(0)
	global_load_b64 v[2:3], v[0:1], off offset:16
	s_waitcnt vmcnt(0)
	v_cmp_eq_u64_e32 vcc_lo, 0, v[2:3]
	s_cbranch_vccnz .LBB1_238
; %bb.237:
	global_load_b32 v0, v[0:1], off offset:24
	s_waitcnt vmcnt(0)
	v_dual_mov_b32 v1, 0 :: v_dual_and_b32 v6, 0xffffff, v0
	s_waitcnt_vscnt null, 0x0
	global_store_b64 v[2:3], v[0:1], off
	v_readfirstlane_b32 m0, v6
	s_sendmsg sendmsg(MSG_INTERRUPT)
.LBB1_238:
	s_or_b32 exec_lo, exec_lo, s1
	s_branch .LBB1_242
	.p2align	6
.LBB1_239:                              ;   in Loop: Header=BB1_242 Depth=1
	s_or_b32 exec_lo, exec_lo, s1
	s_delay_alu instid0(VALU_DEP_1) | instskip(NEXT) | instid1(VALU_DEP_1)
	v_readfirstlane_b32 s1, v0
	s_cmp_eq_u32 s1, 0
	s_cbranch_scc1 .LBB1_241
; %bb.240:                              ;   in Loop: Header=BB1_242 Depth=1
	s_sleep 1
	s_cbranch_execnz .LBB1_242
	s_branch .LBB1_244
	.p2align	6
.LBB1_241:
	s_branch .LBB1_244
.LBB1_242:                              ; =>This Inner Loop Header: Depth=1
	v_mov_b32_e32 v0, 1
	s_and_saveexec_b32 s1, s0
	s_cbranch_execz .LBB1_239
; %bb.243:                              ;   in Loop: Header=BB1_242 Depth=1
	global_load_b32 v0, v[10:11], off offset:20 glc
	s_waitcnt vmcnt(0)
	buffer_gl1_inv
	buffer_gl0_inv
	v_and_b32_e32 v0, 1, v0
	s_branch .LBB1_239
.LBB1_244:
	global_load_b64 v[6:7], v[8:9], off
	s_and_saveexec_b32 s1, s0
	s_cbranch_execz .LBB1_248
; %bb.245:
	v_mov_b32_e32 v10, 0
	s_clause 0x2
	global_load_b64 v[2:3], v10, s[2:3] offset:40
	global_load_b64 v[11:12], v10, s[2:3] offset:24 glc
	global_load_b64 v[8:9], v10, s[2:3]
	s_waitcnt vmcnt(2)
	v_add_co_u32 v13, vcc_lo, v2, 1
	v_add_co_ci_u32_e32 v14, vcc_lo, 0, v3, vcc_lo
	s_delay_alu instid0(VALU_DEP_2) | instskip(NEXT) | instid1(VALU_DEP_2)
	v_add_co_u32 v0, vcc_lo, v13, s4
	v_add_co_ci_u32_e32 v1, vcc_lo, s5, v14, vcc_lo
	s_delay_alu instid0(VALU_DEP_1) | instskip(SKIP_1) | instid1(VALU_DEP_1)
	v_cmp_eq_u64_e32 vcc_lo, 0, v[0:1]
	v_dual_cndmask_b32 v1, v1, v14 :: v_dual_cndmask_b32 v0, v0, v13
	v_and_b32_e32 v3, v1, v3
	s_delay_alu instid0(VALU_DEP_2) | instskip(NEXT) | instid1(VALU_DEP_2)
	v_and_b32_e32 v2, v0, v2
	v_mul_lo_u32 v3, v3, 24
	s_delay_alu instid0(VALU_DEP_2) | instskip(SKIP_1) | instid1(VALU_DEP_2)
	v_mul_hi_u32 v13, v2, 24
	v_mul_lo_u32 v2, v2, 24
	v_add_nc_u32_e32 v3, v13, v3
	s_waitcnt vmcnt(0)
	s_delay_alu instid0(VALU_DEP_2) | instskip(SKIP_1) | instid1(VALU_DEP_3)
	v_add_co_u32 v8, vcc_lo, v8, v2
	v_mov_b32_e32 v2, v11
	v_add_co_ci_u32_e32 v9, vcc_lo, v9, v3, vcc_lo
	v_mov_b32_e32 v3, v12
	global_store_b64 v[8:9], v[11:12], off
	s_waitcnt_vscnt null, 0x0
	global_atomic_cmpswap_b64 v[2:3], v10, v[0:3], s[2:3] offset:24 glc
	s_waitcnt vmcnt(0)
	v_cmp_ne_u64_e32 vcc_lo, v[2:3], v[11:12]
	s_and_b32 exec_lo, exec_lo, vcc_lo
	s_cbranch_execz .LBB1_248
; %bb.246:
	s_mov_b32 s0, 0
.LBB1_247:                              ; =>This Inner Loop Header: Depth=1
	s_sleep 1
	global_store_b64 v[8:9], v[2:3], off
	s_waitcnt_vscnt null, 0x0
	global_atomic_cmpswap_b64 v[11:12], v10, v[0:3], s[2:3] offset:24 glc
	s_waitcnt vmcnt(0)
	v_cmp_eq_u64_e32 vcc_lo, v[11:12], v[2:3]
	v_dual_mov_b32 v2, v11 :: v_dual_mov_b32 v3, v12
	s_or_b32 s0, vcc_lo, s0
	s_delay_alu instid0(SALU_CYCLE_1)
	s_and_not1_b32 exec_lo, exec_lo, s0
	s_cbranch_execnz .LBB1_247
.LBB1_248:
	s_or_b32 exec_lo, exec_lo, s1
.LBB1_249:
	v_readfirstlane_b32 s0, v35
	v_mov_b32_e32 v10, 0
	v_mov_b32_e32 v11, 0
	s_delay_alu instid0(VALU_DEP_3) | instskip(NEXT) | instid1(VALU_DEP_1)
	v_cmp_eq_u32_e64 s0, s0, v35
	s_and_saveexec_b32 s1, s0
	s_cbranch_execz .LBB1_255
; %bb.250:
	s_waitcnt vmcnt(0)
	v_mov_b32_e32 v0, 0
	s_mov_b32 s4, exec_lo
	global_load_b64 v[12:13], v0, s[2:3] offset:24 glc
	s_waitcnt vmcnt(0)
	buffer_gl1_inv
	buffer_gl0_inv
	s_clause 0x1
	global_load_b64 v[1:2], v0, s[2:3] offset:40
	global_load_b64 v[8:9], v0, s[2:3]
	s_waitcnt vmcnt(1)
	v_and_b32_e32 v1, v1, v12
	v_and_b32_e32 v2, v2, v13
	s_delay_alu instid0(VALU_DEP_2) | instskip(NEXT) | instid1(VALU_DEP_2)
	v_mul_hi_u32 v3, v1, 24
	v_mul_lo_u32 v2, v2, 24
	v_mul_lo_u32 v1, v1, 24
	s_delay_alu instid0(VALU_DEP_2) | instskip(SKIP_1) | instid1(VALU_DEP_2)
	v_add_nc_u32_e32 v2, v3, v2
	s_waitcnt vmcnt(0)
	v_add_co_u32 v1, vcc_lo, v8, v1
	s_delay_alu instid0(VALU_DEP_2)
	v_add_co_ci_u32_e32 v2, vcc_lo, v9, v2, vcc_lo
	global_load_b64 v[10:11], v[1:2], off glc
	s_waitcnt vmcnt(0)
	global_atomic_cmpswap_b64 v[10:11], v0, v[10:13], s[2:3] offset:24 glc
	s_waitcnt vmcnt(0)
	buffer_gl1_inv
	buffer_gl0_inv
	v_cmpx_ne_u64_e64 v[10:11], v[12:13]
	s_cbranch_execz .LBB1_254
; %bb.251:
	s_mov_b32 s5, 0
	.p2align	6
.LBB1_252:                              ; =>This Inner Loop Header: Depth=1
	s_sleep 1
	s_clause 0x1
	global_load_b64 v[1:2], v0, s[2:3] offset:40
	global_load_b64 v[8:9], v0, s[2:3]
	v_dual_mov_b32 v13, v11 :: v_dual_mov_b32 v12, v10
	s_waitcnt vmcnt(1)
	s_delay_alu instid0(VALU_DEP_1) | instskip(SKIP_1) | instid1(VALU_DEP_1)
	v_and_b32_e32 v1, v1, v12
	s_waitcnt vmcnt(0)
	v_mad_u64_u32 v[10:11], null, v1, 24, v[8:9]
	s_delay_alu instid0(VALU_DEP_1) | instskip(NEXT) | instid1(VALU_DEP_1)
	v_dual_mov_b32 v1, v11 :: v_dual_and_b32 v8, v2, v13
	v_mad_u64_u32 v[2:3], null, v8, 24, v[1:2]
	s_delay_alu instid0(VALU_DEP_1)
	v_mov_b32_e32 v11, v2
	global_load_b64 v[10:11], v[10:11], off glc
	s_waitcnt vmcnt(0)
	global_atomic_cmpswap_b64 v[10:11], v0, v[10:13], s[2:3] offset:24 glc
	s_waitcnt vmcnt(0)
	buffer_gl1_inv
	buffer_gl0_inv
	v_cmp_eq_u64_e32 vcc_lo, v[10:11], v[12:13]
	s_or_b32 s5, vcc_lo, s5
	s_delay_alu instid0(SALU_CYCLE_1)
	s_and_not1_b32 exec_lo, exec_lo, s5
	s_cbranch_execnz .LBB1_252
; %bb.253:
	s_or_b32 exec_lo, exec_lo, s5
.LBB1_254:
	s_delay_alu instid0(SALU_CYCLE_1)
	s_or_b32 exec_lo, exec_lo, s4
.LBB1_255:
	s_delay_alu instid0(SALU_CYCLE_1)
	s_or_b32 exec_lo, exec_lo, s1
	s_waitcnt vmcnt(0)
	v_mov_b32_e32 v9, 0
	v_readfirstlane_b32 s4, v10
	v_readfirstlane_b32 s5, v11
	s_mov_b32 s1, exec_lo
	s_clause 0x1
	global_load_b64 v[12:13], v9, s[2:3] offset:40
	global_load_b128 v[0:3], v9, s[2:3]
	s_waitcnt vmcnt(1)
	v_readfirstlane_b32 s6, v12
	v_readfirstlane_b32 s7, v13
	s_delay_alu instid0(VALU_DEP_1) | instskip(NEXT) | instid1(SALU_CYCLE_1)
	s_and_b64 s[6:7], s[4:5], s[6:7]
	s_mul_i32 s10, s7, 24
	s_mul_hi_u32 s11, s6, 24
	s_mul_i32 s12, s6, 24
	s_add_i32 s11, s11, s10
	s_waitcnt vmcnt(0)
	v_add_co_u32 v10, vcc_lo, v0, s12
	v_add_co_ci_u32_e32 v11, vcc_lo, s11, v1, vcc_lo
	s_and_saveexec_b32 s10, s0
	s_cbranch_execz .LBB1_257
; %bb.256:
	v_dual_mov_b32 v8, s1 :: v_dual_mov_b32 v15, 1
	v_dual_mov_b32 v14, 2 :: v_dual_mov_b32 v13, v9
	s_delay_alu instid0(VALU_DEP_2)
	v_mov_b32_e32 v12, v8
	global_store_b128 v[10:11], v[12:15], off offset:8
.LBB1_257:
	s_or_b32 exec_lo, exec_lo, s10
	s_lshl_b64 s[6:7], s[6:7], 12
	s_mov_b32 s12, 0
	v_add_co_u32 v2, vcc_lo, v2, s6
	v_add_co_ci_u32_e32 v3, vcc_lo, s7, v3, vcc_lo
	s_mov_b32 s15, s12
	s_delay_alu instid0(VALU_DEP_2)
	v_add_co_u32 v12, vcc_lo, v2, v34
	s_mov_b32 s13, s12
	s_mov_b32 s14, s12
	v_and_or_b32 v6, 0xffffff1f, v6, 32
	v_dual_mov_b32 v8, 0x331 :: v_dual_mov_b32 v17, s15
	v_readfirstlane_b32 s6, v2
	v_readfirstlane_b32 s7, v3
	v_add_co_ci_u32_e32 v13, vcc_lo, 0, v3, vcc_lo
	v_dual_mov_b32 v16, s14 :: v_dual_mov_b32 v15, s13
	v_mov_b32_e32 v14, s12
	s_clause 0x3
	global_store_b128 v34, v[6:9], s[6:7]
	global_store_b128 v34, v[14:17], s[6:7] offset:16
	global_store_b128 v34, v[14:17], s[6:7] offset:32
	;; [unrolled: 1-line block ×3, first 2 shown]
	s_and_saveexec_b32 s1, s0
	s_cbranch_execz .LBB1_265
; %bb.258:
	v_dual_mov_b32 v8, 0 :: v_dual_mov_b32 v15, s5
	v_mov_b32_e32 v14, s4
	s_clause 0x1
	global_load_b64 v[16:17], v8, s[2:3] offset:32 glc
	global_load_b64 v[2:3], v8, s[2:3] offset:40
	s_waitcnt vmcnt(0)
	v_readfirstlane_b32 s6, v2
	v_readfirstlane_b32 s7, v3
	s_delay_alu instid0(VALU_DEP_1) | instskip(NEXT) | instid1(SALU_CYCLE_1)
	s_and_b64 s[6:7], s[6:7], s[4:5]
	s_mul_i32 s7, s7, 24
	s_mul_hi_u32 s10, s6, 24
	s_mul_i32 s6, s6, 24
	s_add_i32 s10, s10, s7
	v_add_co_u32 v6, vcc_lo, v0, s6
	v_add_co_ci_u32_e32 v7, vcc_lo, s10, v1, vcc_lo
	s_mov_b32 s6, exec_lo
	global_store_b64 v[6:7], v[16:17], off
	s_waitcnt_vscnt null, 0x0
	global_atomic_cmpswap_b64 v[2:3], v8, v[14:17], s[2:3] offset:32 glc
	s_waitcnt vmcnt(0)
	v_cmpx_ne_u64_e64 v[2:3], v[16:17]
	s_cbranch_execz .LBB1_261
; %bb.259:
	s_mov_b32 s7, 0
.LBB1_260:                              ; =>This Inner Loop Header: Depth=1
	v_dual_mov_b32 v0, s4 :: v_dual_mov_b32 v1, s5
	s_sleep 1
	global_store_b64 v[6:7], v[2:3], off
	s_waitcnt_vscnt null, 0x0
	global_atomic_cmpswap_b64 v[0:1], v8, v[0:3], s[2:3] offset:32 glc
	s_waitcnt vmcnt(0)
	v_cmp_eq_u64_e32 vcc_lo, v[0:1], v[2:3]
	v_dual_mov_b32 v3, v1 :: v_dual_mov_b32 v2, v0
	s_or_b32 s7, vcc_lo, s7
	s_delay_alu instid0(SALU_CYCLE_1)
	s_and_not1_b32 exec_lo, exec_lo, s7
	s_cbranch_execnz .LBB1_260
.LBB1_261:
	s_or_b32 exec_lo, exec_lo, s6
	v_mov_b32_e32 v3, 0
	s_mov_b32 s7, exec_lo
	s_mov_b32 s6, exec_lo
	v_mbcnt_lo_u32_b32 v2, s7, 0
	global_load_b64 v[0:1], v3, s[2:3] offset:16
	v_cmpx_eq_u32_e32 0, v2
	s_cbranch_execz .LBB1_263
; %bb.262:
	s_bcnt1_i32_b32 s7, s7
	s_delay_alu instid0(SALU_CYCLE_1)
	v_mov_b32_e32 v2, s7
	s_waitcnt vmcnt(0)
	global_atomic_add_u64 v[0:1], v[2:3], off offset:8
.LBB1_263:
	s_or_b32 exec_lo, exec_lo, s6
	s_waitcnt vmcnt(0)
	global_load_b64 v[2:3], v[0:1], off offset:16
	s_waitcnt vmcnt(0)
	v_cmp_eq_u64_e32 vcc_lo, 0, v[2:3]
	s_cbranch_vccnz .LBB1_265
; %bb.264:
	global_load_b32 v0, v[0:1], off offset:24
	s_waitcnt vmcnt(0)
	v_dual_mov_b32 v1, 0 :: v_dual_and_b32 v6, 0xffffff, v0
	s_waitcnt_vscnt null, 0x0
	global_store_b64 v[2:3], v[0:1], off
	v_readfirstlane_b32 m0, v6
	s_sendmsg sendmsg(MSG_INTERRUPT)
.LBB1_265:
	s_or_b32 exec_lo, exec_lo, s1
	s_branch .LBB1_269
	.p2align	6
.LBB1_266:                              ;   in Loop: Header=BB1_269 Depth=1
	s_or_b32 exec_lo, exec_lo, s1
	s_delay_alu instid0(VALU_DEP_1) | instskip(NEXT) | instid1(VALU_DEP_1)
	v_readfirstlane_b32 s1, v0
	s_cmp_eq_u32 s1, 0
	s_cbranch_scc1 .LBB1_268
; %bb.267:                              ;   in Loop: Header=BB1_269 Depth=1
	s_sleep 1
	s_cbranch_execnz .LBB1_269
	s_branch .LBB1_271
	.p2align	6
.LBB1_268:
	s_branch .LBB1_271
.LBB1_269:                              ; =>This Inner Loop Header: Depth=1
	v_mov_b32_e32 v0, 1
	s_and_saveexec_b32 s1, s0
	s_cbranch_execz .LBB1_266
; %bb.270:                              ;   in Loop: Header=BB1_269 Depth=1
	global_load_b32 v0, v[10:11], off offset:20 glc
	s_waitcnt vmcnt(0)
	buffer_gl1_inv
	buffer_gl0_inv
	v_and_b32_e32 v0, 1, v0
	s_branch .LBB1_266
.LBB1_271:
	global_load_b64 v[0:1], v[12:13], off
	s_and_saveexec_b32 s1, s0
	s_cbranch_execz .LBB1_275
; %bb.272:
	v_mov_b32_e32 v10, 0
	s_clause 0x2
	global_load_b64 v[2:3], v10, s[2:3] offset:40
	global_load_b64 v[11:12], v10, s[2:3] offset:24 glc
	global_load_b64 v[8:9], v10, s[2:3]
	s_waitcnt vmcnt(2)
	v_add_co_u32 v13, vcc_lo, v2, 1
	v_add_co_ci_u32_e32 v14, vcc_lo, 0, v3, vcc_lo
	s_delay_alu instid0(VALU_DEP_2) | instskip(NEXT) | instid1(VALU_DEP_2)
	v_add_co_u32 v6, vcc_lo, v13, s4
	v_add_co_ci_u32_e32 v7, vcc_lo, s5, v14, vcc_lo
	s_delay_alu instid0(VALU_DEP_1) | instskip(SKIP_1) | instid1(VALU_DEP_1)
	v_cmp_eq_u64_e32 vcc_lo, 0, v[6:7]
	v_dual_cndmask_b32 v7, v7, v14 :: v_dual_cndmask_b32 v6, v6, v13
	v_and_b32_e32 v3, v7, v3
	s_delay_alu instid0(VALU_DEP_2) | instskip(NEXT) | instid1(VALU_DEP_2)
	v_and_b32_e32 v2, v6, v2
	v_mul_lo_u32 v3, v3, 24
	s_delay_alu instid0(VALU_DEP_2) | instskip(SKIP_1) | instid1(VALU_DEP_2)
	v_mul_hi_u32 v13, v2, 24
	v_mul_lo_u32 v2, v2, 24
	v_add_nc_u32_e32 v3, v13, v3
	s_waitcnt vmcnt(0)
	s_delay_alu instid0(VALU_DEP_2) | instskip(SKIP_1) | instid1(VALU_DEP_3)
	v_add_co_u32 v2, vcc_lo, v8, v2
	v_mov_b32_e32 v8, v11
	v_add_co_ci_u32_e32 v3, vcc_lo, v9, v3, vcc_lo
	v_mov_b32_e32 v9, v12
	global_store_b64 v[2:3], v[11:12], off
	s_waitcnt_vscnt null, 0x0
	global_atomic_cmpswap_b64 v[8:9], v10, v[6:9], s[2:3] offset:24 glc
	s_waitcnt vmcnt(0)
	v_cmp_ne_u64_e32 vcc_lo, v[8:9], v[11:12]
	s_and_b32 exec_lo, exec_lo, vcc_lo
	s_cbranch_execz .LBB1_275
; %bb.273:
	s_mov_b32 s0, 0
.LBB1_274:                              ; =>This Inner Loop Header: Depth=1
	s_sleep 1
	global_store_b64 v[2:3], v[8:9], off
	s_waitcnt_vscnt null, 0x0
	global_atomic_cmpswap_b64 v[11:12], v10, v[6:9], s[2:3] offset:24 glc
	s_waitcnt vmcnt(0)
	v_cmp_eq_u64_e32 vcc_lo, v[11:12], v[8:9]
	v_dual_mov_b32 v8, v11 :: v_dual_mov_b32 v9, v12
	s_or_b32 s0, vcc_lo, s0
	s_delay_alu instid0(SALU_CYCLE_1)
	s_and_not1_b32 exec_lo, exec_lo, s0
	s_cbranch_execnz .LBB1_274
.LBB1_275:
	s_or_b32 exec_lo, exec_lo, s1
	v_dual_mov_b32 v7, v5 :: v_dual_mov_b32 v6, v4
	s_mov_b32 s0, 0
.LBB1_276:                              ; =>This Inner Loop Header: Depth=1
	flat_load_u8 v8, v[6:7]
	v_add_co_u32 v2, vcc_lo, v6, 1
	v_add_co_ci_u32_e32 v3, vcc_lo, 0, v7, vcc_lo
	s_delay_alu instid0(VALU_DEP_1) | instskip(SKIP_3) | instid1(SALU_CYCLE_1)
	v_dual_mov_b32 v7, v3 :: v_dual_mov_b32 v6, v2
	s_waitcnt vmcnt(0) lgkmcnt(0)
	v_cmp_eq_u16_e32 vcc_lo, 0, v8
	s_or_b32 s0, vcc_lo, s0
	s_and_not1_b32 exec_lo, exec_lo, s0
	s_cbranch_execnz .LBB1_276
; %bb.277:
	s_or_b32 exec_lo, exec_lo, s0
	s_delay_alu instid0(SALU_CYCLE_1)
	s_mov_b32 s0, exec_lo
	v_cmpx_ne_u64_e32 0, v[4:5]
	s_xor_b32 s10, exec_lo, s0
	s_cbranch_execz .LBB1_363
; %bb.278:
	v_sub_nc_u32_e32 v26, v2, v4
	v_dual_mov_b32 v7, 0 :: v_dual_and_b32 v32, 2, v0
	v_dual_mov_b32 v9, 1 :: v_dual_and_b32 v0, -3, v0
	v_mov_b32_e32 v8, 2
	s_delay_alu instid0(VALU_DEP_4)
	v_ashrrev_i32_e32 v27, 31, v26
	s_mov_b32 s12, 0
	s_mov_b32 s11, 0
	s_branch .LBB1_280
.LBB1_279:                              ;   in Loop: Header=BB1_280 Depth=1
	s_or_b32 exec_lo, exec_lo, s1
	v_sub_co_u32 v26, vcc_lo, v26, v28
	v_sub_co_ci_u32_e32 v27, vcc_lo, v27, v29, vcc_lo
	v_add_co_u32 v4, s0, v4, v28
	s_delay_alu instid0(VALU_DEP_1) | instskip(NEXT) | instid1(VALU_DEP_3)
	v_add_co_ci_u32_e64 v5, s0, v5, v29, s0
	v_cmp_eq_u64_e32 vcc_lo, 0, v[26:27]
	s_or_b32 s11, vcc_lo, s11
	s_delay_alu instid0(SALU_CYCLE_1)
	s_and_not1_b32 exec_lo, exec_lo, s11
	s_cbranch_execz .LBB1_362
.LBB1_280:                              ; =>This Loop Header: Depth=1
                                        ;     Child Loop BB1_283 Depth 2
                                        ;     Child Loop BB1_291 Depth 2
	;; [unrolled: 1-line block ×11, first 2 shown]
	s_delay_alu instid0(VALU_DEP_1)
	v_cmp_gt_u64_e32 vcc_lo, 56, v[26:27]
	s_mov_b32 s1, exec_lo
                                        ; implicit-def: $vgpr2_vgpr3
                                        ; implicit-def: $sgpr4
	v_dual_cndmask_b32 v29, 0, v27 :: v_dual_cndmask_b32 v28, 56, v26
	v_cmpx_gt_u64_e32 8, v[26:27]
	s_xor_b32 s1, exec_lo, s1
	s_cbranch_execz .LBB1_286
; %bb.281:                              ;   in Loop: Header=BB1_280 Depth=1
	s_waitcnt vmcnt(0)
	v_mov_b32_e32 v2, 0
	v_mov_b32_e32 v3, 0
	s_mov_b64 s[4:5], 0
	s_mov_b32 s6, exec_lo
	v_cmpx_ne_u64_e32 0, v[26:27]
	s_cbranch_execz .LBB1_285
; %bb.282:                              ;   in Loop: Header=BB1_280 Depth=1
	v_lshlrev_b64 v[10:11], 3, v[28:29]
	v_mov_b32_e32 v2, 0
	v_dual_mov_b32 v3, 0 :: v_dual_mov_b32 v12, v5
	v_mov_b32_e32 v11, v4
	s_mov_b32 s7, 0
	.p2align	6
.LBB1_283:                              ;   Parent Loop BB1_280 Depth=1
                                        ; =>  This Inner Loop Header: Depth=2
	flat_load_u8 v6, v[11:12]
	v_mov_b32_e32 v14, s12
	v_add_co_u32 v11, vcc_lo, v11, 1
	v_add_co_ci_u32_e32 v12, vcc_lo, 0, v12, vcc_lo
	s_waitcnt vmcnt(0) lgkmcnt(0)
	v_and_b32_e32 v13, 0xffff, v6
	s_delay_alu instid0(VALU_DEP_1) | instskip(SKIP_3) | instid1(VALU_DEP_2)
	v_lshlrev_b64 v[13:14], s4, v[13:14]
	s_add_u32 s4, s4, 8
	s_addc_u32 s5, s5, 0
	v_cmp_eq_u32_e64 s0, s4, v10
	v_or_b32_e32 v3, v14, v3
	s_delay_alu instid0(VALU_DEP_3) | instskip(NEXT) | instid1(VALU_DEP_3)
	v_or_b32_e32 v2, v13, v2
	s_or_b32 s7, s0, s7
	s_delay_alu instid0(SALU_CYCLE_1)
	s_and_not1_b32 exec_lo, exec_lo, s7
	s_cbranch_execnz .LBB1_283
; %bb.284:                              ;   in Loop: Header=BB1_280 Depth=1
	s_or_b32 exec_lo, exec_lo, s7
.LBB1_285:                              ;   in Loop: Header=BB1_280 Depth=1
	s_delay_alu instid0(SALU_CYCLE_1)
	s_or_b32 exec_lo, exec_lo, s6
	s_mov_b32 s4, 0
.LBB1_286:                              ;   in Loop: Header=BB1_280 Depth=1
	s_or_saveexec_b32 s0, s1
	v_dual_mov_b32 v6, s4 :: v_dual_mov_b32 v23, v5
	v_mov_b32_e32 v22, v4
	s_xor_b32 exec_lo, exec_lo, s0
	s_cbranch_execz .LBB1_288
; %bb.287:                              ;   in Loop: Header=BB1_280 Depth=1
	s_waitcnt vmcnt(0)
	flat_load_b64 v[2:3], v[4:5]
	v_add_co_u32 v22, vcc_lo, v4, 8
	v_add_co_ci_u32_e32 v23, vcc_lo, 0, v5, vcc_lo
	s_waitcnt vmcnt(0) lgkmcnt(0)
	v_and_b32_e32 v6, 0xff, v3
	v_and_b32_e32 v10, 0xff00, v3
	;; [unrolled: 1-line block ×4, first 2 shown]
	v_or3_b32 v2, v2, 0, 0
	s_delay_alu instid0(VALU_DEP_4) | instskip(SKIP_1) | instid1(VALU_DEP_2)
	v_or_b32_e32 v10, v6, v10
	v_add_nc_u32_e32 v6, -8, v28
	v_or3_b32 v3, v10, v11, v3
.LBB1_288:                              ;   in Loop: Header=BB1_280 Depth=1
	s_or_b32 exec_lo, exec_lo, s0
                                        ; implicit-def: $vgpr10_vgpr11
                                        ; implicit-def: $sgpr1
	s_delay_alu instid0(SALU_CYCLE_1) | instskip(NEXT) | instid1(VALU_DEP_2)
	s_mov_b32 s0, exec_lo
	v_cmpx_gt_u32_e32 8, v6
	s_xor_b32 s6, exec_lo, s0
	s_cbranch_execz .LBB1_294
; %bb.289:                              ;   in Loop: Header=BB1_280 Depth=1
	v_mov_b32_e32 v10, 0
	v_mov_b32_e32 v11, 0
	s_mov_b32 s7, exec_lo
	v_cmpx_ne_u32_e32 0, v6
	s_cbranch_execz .LBB1_293
; %bb.290:                              ;   in Loop: Header=BB1_280 Depth=1
	v_mov_b32_e32 v10, 0
	v_mov_b32_e32 v11, 0
	s_mov_b64 s[0:1], 0
	s_mov_b32 s13, 0
	s_mov_b64 s[4:5], 0
	.p2align	6
.LBB1_291:                              ;   Parent Loop BB1_280 Depth=1
                                        ; =>  This Inner Loop Header: Depth=2
	s_delay_alu instid0(SALU_CYCLE_1)
	v_add_co_u32 v12, vcc_lo, v22, s4
	v_add_co_ci_u32_e32 v13, vcc_lo, s5, v23, vcc_lo
	s_add_u32 s4, s4, 1
	s_addc_u32 s5, s5, 0
	v_cmp_eq_u32_e32 vcc_lo, s4, v6
	flat_load_u8 v12, v[12:13]
	s_waitcnt vmcnt(0) lgkmcnt(0)
	v_dual_mov_b32 v13, s12 :: v_dual_and_b32 v12, 0xffff, v12
	s_delay_alu instid0(VALU_DEP_1) | instskip(SKIP_3) | instid1(VALU_DEP_1)
	v_lshlrev_b64 v[12:13], s0, v[12:13]
	s_add_u32 s0, s0, 8
	s_addc_u32 s1, s1, 0
	s_or_b32 s13, vcc_lo, s13
	v_or_b32_e32 v11, v13, v11
	s_delay_alu instid0(VALU_DEP_2)
	v_or_b32_e32 v10, v12, v10
	s_and_not1_b32 exec_lo, exec_lo, s13
	s_cbranch_execnz .LBB1_291
; %bb.292:                              ;   in Loop: Header=BB1_280 Depth=1
	s_or_b32 exec_lo, exec_lo, s13
.LBB1_293:                              ;   in Loop: Header=BB1_280 Depth=1
	s_delay_alu instid0(SALU_CYCLE_1)
	s_or_b32 exec_lo, exec_lo, s7
	s_mov_b32 s1, 0
                                        ; implicit-def: $vgpr6
.LBB1_294:                              ;   in Loop: Header=BB1_280 Depth=1
	s_or_saveexec_b32 s0, s6
	v_mov_b32_e32 v14, s1
	s_xor_b32 exec_lo, exec_lo, s0
	s_cbranch_execz .LBB1_296
; %bb.295:                              ;   in Loop: Header=BB1_280 Depth=1
	flat_load_b64 v[10:11], v[22:23]
	v_add_co_u32 v22, vcc_lo, v22, 8
	v_add_nc_u32_e32 v14, -8, v6
	v_add_co_ci_u32_e32 v23, vcc_lo, 0, v23, vcc_lo
	s_waitcnt vmcnt(0) lgkmcnt(0)
	v_and_b32_e32 v12, 0xff, v11
	v_and_b32_e32 v13, 0xff00, v11
	;; [unrolled: 1-line block ×4, first 2 shown]
	v_or3_b32 v10, v10, 0, 0
	s_delay_alu instid0(VALU_DEP_4) | instskip(NEXT) | instid1(VALU_DEP_1)
	v_or_b32_e32 v12, v12, v13
	v_or3_b32 v11, v12, v15, v11
.LBB1_296:                              ;   in Loop: Header=BB1_280 Depth=1
	s_or_b32 exec_lo, exec_lo, s0
                                        ; implicit-def: $sgpr1
	s_delay_alu instid0(SALU_CYCLE_1)
	s_mov_b32 s0, exec_lo
	v_cmpx_gt_u32_e32 8, v14
	s_xor_b32 s6, exec_lo, s0
	s_cbranch_execz .LBB1_302
; %bb.297:                              ;   in Loop: Header=BB1_280 Depth=1
	v_mov_b32_e32 v12, 0
	v_mov_b32_e32 v13, 0
	s_mov_b32 s7, exec_lo
	v_cmpx_ne_u32_e32 0, v14
	s_cbranch_execz .LBB1_301
; %bb.298:                              ;   in Loop: Header=BB1_280 Depth=1
	v_mov_b32_e32 v12, 0
	v_mov_b32_e32 v13, 0
	s_mov_b64 s[0:1], 0
	s_mov_b32 s13, 0
	s_mov_b64 s[4:5], 0
	.p2align	6
.LBB1_299:                              ;   Parent Loop BB1_280 Depth=1
                                        ; =>  This Inner Loop Header: Depth=2
	s_delay_alu instid0(SALU_CYCLE_1)
	v_add_co_u32 v15, vcc_lo, v22, s4
	v_add_co_ci_u32_e32 v16, vcc_lo, s5, v23, vcc_lo
	s_add_u32 s4, s4, 1
	s_addc_u32 s5, s5, 0
	v_cmp_eq_u32_e32 vcc_lo, s4, v14
	flat_load_u8 v6, v[15:16]
	s_waitcnt vmcnt(0) lgkmcnt(0)
	v_dual_mov_b32 v16, s12 :: v_dual_and_b32 v15, 0xffff, v6
	s_delay_alu instid0(VALU_DEP_1) | instskip(SKIP_3) | instid1(VALU_DEP_1)
	v_lshlrev_b64 v[15:16], s0, v[15:16]
	s_add_u32 s0, s0, 8
	s_addc_u32 s1, s1, 0
	s_or_b32 s13, vcc_lo, s13
	v_or_b32_e32 v13, v16, v13
	s_delay_alu instid0(VALU_DEP_2)
	v_or_b32_e32 v12, v15, v12
	s_and_not1_b32 exec_lo, exec_lo, s13
	s_cbranch_execnz .LBB1_299
; %bb.300:                              ;   in Loop: Header=BB1_280 Depth=1
	s_or_b32 exec_lo, exec_lo, s13
.LBB1_301:                              ;   in Loop: Header=BB1_280 Depth=1
	s_delay_alu instid0(SALU_CYCLE_1)
	s_or_b32 exec_lo, exec_lo, s7
	s_mov_b32 s1, 0
                                        ; implicit-def: $vgpr14
.LBB1_302:                              ;   in Loop: Header=BB1_280 Depth=1
	s_or_saveexec_b32 s0, s6
	v_mov_b32_e32 v6, s1
	s_xor_b32 exec_lo, exec_lo, s0
	s_cbranch_execz .LBB1_304
; %bb.303:                              ;   in Loop: Header=BB1_280 Depth=1
	flat_load_b64 v[12:13], v[22:23]
	v_add_co_u32 v22, vcc_lo, v22, 8
	v_add_co_ci_u32_e32 v23, vcc_lo, 0, v23, vcc_lo
	s_waitcnt vmcnt(0) lgkmcnt(0)
	v_and_b32_e32 v6, 0xff, v13
	v_and_b32_e32 v15, 0xff00, v13
	;; [unrolled: 1-line block ×4, first 2 shown]
	v_or3_b32 v12, v12, 0, 0
	s_delay_alu instid0(VALU_DEP_4) | instskip(SKIP_1) | instid1(VALU_DEP_2)
	v_or_b32_e32 v15, v6, v15
	v_add_nc_u32_e32 v6, -8, v14
	v_or3_b32 v13, v15, v16, v13
.LBB1_304:                              ;   in Loop: Header=BB1_280 Depth=1
	s_or_b32 exec_lo, exec_lo, s0
                                        ; implicit-def: $vgpr14_vgpr15
                                        ; implicit-def: $sgpr1
	s_delay_alu instid0(SALU_CYCLE_1) | instskip(NEXT) | instid1(VALU_DEP_1)
	s_mov_b32 s0, exec_lo
	v_cmpx_gt_u32_e32 8, v6
	s_xor_b32 s6, exec_lo, s0
	s_cbranch_execz .LBB1_310
; %bb.305:                              ;   in Loop: Header=BB1_280 Depth=1
	v_mov_b32_e32 v14, 0
	v_mov_b32_e32 v15, 0
	s_mov_b32 s7, exec_lo
	v_cmpx_ne_u32_e32 0, v6
	s_cbranch_execz .LBB1_309
; %bb.306:                              ;   in Loop: Header=BB1_280 Depth=1
	v_mov_b32_e32 v14, 0
	v_mov_b32_e32 v15, 0
	s_mov_b64 s[0:1], 0
	s_mov_b32 s13, 0
	s_mov_b64 s[4:5], 0
	.p2align	6
.LBB1_307:                              ;   Parent Loop BB1_280 Depth=1
                                        ; =>  This Inner Loop Header: Depth=2
	s_delay_alu instid0(SALU_CYCLE_1)
	v_add_co_u32 v16, vcc_lo, v22, s4
	v_add_co_ci_u32_e32 v17, vcc_lo, s5, v23, vcc_lo
	s_add_u32 s4, s4, 1
	s_addc_u32 s5, s5, 0
	v_cmp_eq_u32_e32 vcc_lo, s4, v6
	flat_load_u8 v16, v[16:17]
	s_waitcnt vmcnt(0) lgkmcnt(0)
	v_dual_mov_b32 v17, s12 :: v_dual_and_b32 v16, 0xffff, v16
	s_delay_alu instid0(VALU_DEP_1) | instskip(SKIP_3) | instid1(VALU_DEP_1)
	v_lshlrev_b64 v[16:17], s0, v[16:17]
	s_add_u32 s0, s0, 8
	s_addc_u32 s1, s1, 0
	s_or_b32 s13, vcc_lo, s13
	v_or_b32_e32 v15, v17, v15
	s_delay_alu instid0(VALU_DEP_2)
	v_or_b32_e32 v14, v16, v14
	s_and_not1_b32 exec_lo, exec_lo, s13
	s_cbranch_execnz .LBB1_307
; %bb.308:                              ;   in Loop: Header=BB1_280 Depth=1
	s_or_b32 exec_lo, exec_lo, s13
.LBB1_309:                              ;   in Loop: Header=BB1_280 Depth=1
	s_delay_alu instid0(SALU_CYCLE_1)
	s_or_b32 exec_lo, exec_lo, s7
	s_mov_b32 s1, 0
                                        ; implicit-def: $vgpr6
.LBB1_310:                              ;   in Loop: Header=BB1_280 Depth=1
	s_or_saveexec_b32 s0, s6
	v_mov_b32_e32 v18, s1
	s_xor_b32 exec_lo, exec_lo, s0
	s_cbranch_execz .LBB1_312
; %bb.311:                              ;   in Loop: Header=BB1_280 Depth=1
	flat_load_b64 v[14:15], v[22:23]
	v_add_co_u32 v22, vcc_lo, v22, 8
	v_add_nc_u32_e32 v18, -8, v6
	v_add_co_ci_u32_e32 v23, vcc_lo, 0, v23, vcc_lo
	s_waitcnt vmcnt(0) lgkmcnt(0)
	v_and_b32_e32 v16, 0xff, v15
	v_and_b32_e32 v17, 0xff00, v15
	;; [unrolled: 1-line block ×4, first 2 shown]
	v_or3_b32 v14, v14, 0, 0
	s_delay_alu instid0(VALU_DEP_4) | instskip(NEXT) | instid1(VALU_DEP_1)
	v_or_b32_e32 v16, v16, v17
	v_or3_b32 v15, v16, v19, v15
.LBB1_312:                              ;   in Loop: Header=BB1_280 Depth=1
	s_or_b32 exec_lo, exec_lo, s0
                                        ; implicit-def: $sgpr1
	s_delay_alu instid0(SALU_CYCLE_1)
	s_mov_b32 s0, exec_lo
	v_cmpx_gt_u32_e32 8, v18
	s_xor_b32 s6, exec_lo, s0
	s_cbranch_execz .LBB1_318
; %bb.313:                              ;   in Loop: Header=BB1_280 Depth=1
	v_mov_b32_e32 v16, 0
	v_mov_b32_e32 v17, 0
	s_mov_b32 s7, exec_lo
	v_cmpx_ne_u32_e32 0, v18
	s_cbranch_execz .LBB1_317
; %bb.314:                              ;   in Loop: Header=BB1_280 Depth=1
	v_mov_b32_e32 v16, 0
	v_mov_b32_e32 v17, 0
	s_mov_b64 s[0:1], 0
	s_mov_b32 s13, 0
	s_mov_b64 s[4:5], 0
	.p2align	6
.LBB1_315:                              ;   Parent Loop BB1_280 Depth=1
                                        ; =>  This Inner Loop Header: Depth=2
	s_delay_alu instid0(SALU_CYCLE_1)
	v_add_co_u32 v19, vcc_lo, v22, s4
	v_add_co_ci_u32_e32 v20, vcc_lo, s5, v23, vcc_lo
	s_add_u32 s4, s4, 1
	s_addc_u32 s5, s5, 0
	v_cmp_eq_u32_e32 vcc_lo, s4, v18
	flat_load_u8 v6, v[19:20]
	s_waitcnt vmcnt(0) lgkmcnt(0)
	v_dual_mov_b32 v20, s12 :: v_dual_and_b32 v19, 0xffff, v6
	s_delay_alu instid0(VALU_DEP_1) | instskip(SKIP_3) | instid1(VALU_DEP_1)
	v_lshlrev_b64 v[19:20], s0, v[19:20]
	s_add_u32 s0, s0, 8
	s_addc_u32 s1, s1, 0
	s_or_b32 s13, vcc_lo, s13
	v_or_b32_e32 v17, v20, v17
	s_delay_alu instid0(VALU_DEP_2)
	v_or_b32_e32 v16, v19, v16
	s_and_not1_b32 exec_lo, exec_lo, s13
	s_cbranch_execnz .LBB1_315
; %bb.316:                              ;   in Loop: Header=BB1_280 Depth=1
	s_or_b32 exec_lo, exec_lo, s13
.LBB1_317:                              ;   in Loop: Header=BB1_280 Depth=1
	s_delay_alu instid0(SALU_CYCLE_1)
	s_or_b32 exec_lo, exec_lo, s7
	s_mov_b32 s1, 0
                                        ; implicit-def: $vgpr18
.LBB1_318:                              ;   in Loop: Header=BB1_280 Depth=1
	s_or_saveexec_b32 s0, s6
	v_mov_b32_e32 v6, s1
	s_xor_b32 exec_lo, exec_lo, s0
	s_cbranch_execz .LBB1_320
; %bb.319:                              ;   in Loop: Header=BB1_280 Depth=1
	flat_load_b64 v[16:17], v[22:23]
	v_add_co_u32 v22, vcc_lo, v22, 8
	v_add_co_ci_u32_e32 v23, vcc_lo, 0, v23, vcc_lo
	s_waitcnt vmcnt(0) lgkmcnt(0)
	v_and_b32_e32 v6, 0xff, v17
	v_and_b32_e32 v19, 0xff00, v17
	v_and_b32_e32 v20, 0xff0000, v17
	v_and_b32_e32 v17, 0xff000000, v17
	v_or3_b32 v16, v16, 0, 0
	s_delay_alu instid0(VALU_DEP_4) | instskip(SKIP_1) | instid1(VALU_DEP_2)
	v_or_b32_e32 v19, v6, v19
	v_add_nc_u32_e32 v6, -8, v18
	v_or3_b32 v17, v19, v20, v17
.LBB1_320:                              ;   in Loop: Header=BB1_280 Depth=1
	s_or_b32 exec_lo, exec_lo, s0
                                        ; implicit-def: $vgpr18_vgpr19
                                        ; implicit-def: $sgpr1
	s_delay_alu instid0(SALU_CYCLE_1) | instskip(NEXT) | instid1(VALU_DEP_1)
	s_mov_b32 s0, exec_lo
	v_cmpx_gt_u32_e32 8, v6
	s_xor_b32 s6, exec_lo, s0
	s_cbranch_execz .LBB1_326
; %bb.321:                              ;   in Loop: Header=BB1_280 Depth=1
	v_mov_b32_e32 v18, 0
	v_mov_b32_e32 v19, 0
	s_mov_b32 s7, exec_lo
	v_cmpx_ne_u32_e32 0, v6
	s_cbranch_execz .LBB1_325
; %bb.322:                              ;   in Loop: Header=BB1_280 Depth=1
	v_mov_b32_e32 v18, 0
	v_mov_b32_e32 v19, 0
	s_mov_b64 s[0:1], 0
	s_mov_b32 s13, 0
	s_mov_b64 s[4:5], 0
	.p2align	6
.LBB1_323:                              ;   Parent Loop BB1_280 Depth=1
                                        ; =>  This Inner Loop Header: Depth=2
	s_delay_alu instid0(SALU_CYCLE_1)
	v_add_co_u32 v20, vcc_lo, v22, s4
	v_add_co_ci_u32_e32 v21, vcc_lo, s5, v23, vcc_lo
	s_add_u32 s4, s4, 1
	s_addc_u32 s5, s5, 0
	v_cmp_eq_u32_e32 vcc_lo, s4, v6
	flat_load_u8 v20, v[20:21]
	s_waitcnt vmcnt(0) lgkmcnt(0)
	v_dual_mov_b32 v21, s12 :: v_dual_and_b32 v20, 0xffff, v20
	s_delay_alu instid0(VALU_DEP_1) | instskip(SKIP_3) | instid1(VALU_DEP_1)
	v_lshlrev_b64 v[20:21], s0, v[20:21]
	s_add_u32 s0, s0, 8
	s_addc_u32 s1, s1, 0
	s_or_b32 s13, vcc_lo, s13
	v_or_b32_e32 v19, v21, v19
	s_delay_alu instid0(VALU_DEP_2)
	v_or_b32_e32 v18, v20, v18
	s_and_not1_b32 exec_lo, exec_lo, s13
	s_cbranch_execnz .LBB1_323
; %bb.324:                              ;   in Loop: Header=BB1_280 Depth=1
	s_or_b32 exec_lo, exec_lo, s13
.LBB1_325:                              ;   in Loop: Header=BB1_280 Depth=1
	s_delay_alu instid0(SALU_CYCLE_1)
	s_or_b32 exec_lo, exec_lo, s7
	s_mov_b32 s1, 0
                                        ; implicit-def: $vgpr6
.LBB1_326:                              ;   in Loop: Header=BB1_280 Depth=1
	s_or_saveexec_b32 s0, s6
	v_mov_b32_e32 v24, s1
	s_xor_b32 exec_lo, exec_lo, s0
	s_cbranch_execz .LBB1_328
; %bb.327:                              ;   in Loop: Header=BB1_280 Depth=1
	flat_load_b64 v[18:19], v[22:23]
	v_add_co_u32 v22, vcc_lo, v22, 8
	v_add_nc_u32_e32 v24, -8, v6
	v_add_co_ci_u32_e32 v23, vcc_lo, 0, v23, vcc_lo
	s_waitcnt vmcnt(0) lgkmcnt(0)
	v_and_b32_e32 v20, 0xff, v19
	v_and_b32_e32 v21, 0xff00, v19
	;; [unrolled: 1-line block ×4, first 2 shown]
	v_or3_b32 v18, v18, 0, 0
	s_delay_alu instid0(VALU_DEP_4) | instskip(NEXT) | instid1(VALU_DEP_1)
	v_or_b32_e32 v20, v20, v21
	v_or3_b32 v19, v20, v25, v19
.LBB1_328:                              ;   in Loop: Header=BB1_280 Depth=1
	s_or_b32 exec_lo, exec_lo, s0
	s_delay_alu instid0(SALU_CYCLE_1)
	s_mov_b32 s0, exec_lo
	v_cmpx_gt_u32_e32 8, v24
	s_xor_b32 s4, exec_lo, s0
	s_cbranch_execz .LBB1_334
; %bb.329:                              ;   in Loop: Header=BB1_280 Depth=1
	v_mov_b32_e32 v20, 0
	v_mov_b32_e32 v21, 0
	s_mov_b32 s5, exec_lo
	v_cmpx_ne_u32_e32 0, v24
	s_cbranch_execz .LBB1_333
; %bb.330:                              ;   in Loop: Header=BB1_280 Depth=1
	v_mov_b32_e32 v20, 0
	v_mov_b32_e32 v21, 0
	s_mov_b64 s[0:1], 0
	s_mov_b32 s6, 0
	.p2align	6
.LBB1_331:                              ;   Parent Loop BB1_280 Depth=1
                                        ; =>  This Inner Loop Header: Depth=2
	flat_load_u8 v6, v[22:23]
	v_dual_mov_b32 v31, s12 :: v_dual_add_nc_u32 v24, -1, v24
	v_add_co_u32 v22, vcc_lo, v22, 1
	v_add_co_ci_u32_e32 v23, vcc_lo, 0, v23, vcc_lo
	s_delay_alu instid0(VALU_DEP_3) | instskip(SKIP_2) | instid1(VALU_DEP_1)
	v_cmp_eq_u32_e32 vcc_lo, 0, v24
	s_waitcnt vmcnt(0) lgkmcnt(0)
	v_and_b32_e32 v30, 0xffff, v6
	v_lshlrev_b64 v[30:31], s0, v[30:31]
	s_add_u32 s0, s0, 8
	s_addc_u32 s1, s1, 0
	s_or_b32 s6, vcc_lo, s6
	s_delay_alu instid0(VALU_DEP_1) | instskip(NEXT) | instid1(VALU_DEP_2)
	v_or_b32_e32 v21, v31, v21
	v_or_b32_e32 v20, v30, v20
	s_and_not1_b32 exec_lo, exec_lo, s6
	s_cbranch_execnz .LBB1_331
; %bb.332:                              ;   in Loop: Header=BB1_280 Depth=1
	s_or_b32 exec_lo, exec_lo, s6
.LBB1_333:                              ;   in Loop: Header=BB1_280 Depth=1
	s_delay_alu instid0(SALU_CYCLE_1)
	s_or_b32 exec_lo, exec_lo, s5
                                        ; implicit-def: $vgpr22_vgpr23
.LBB1_334:                              ;   in Loop: Header=BB1_280 Depth=1
	s_and_not1_saveexec_b32 s0, s4
	s_cbranch_execz .LBB1_336
; %bb.335:                              ;   in Loop: Header=BB1_280 Depth=1
	flat_load_b64 v[20:21], v[22:23]
	s_waitcnt vmcnt(0) lgkmcnt(0)
	v_and_b32_e32 v6, 0xff, v21
	v_and_b32_e32 v22, 0xff00, v21
	;; [unrolled: 1-line block ×4, first 2 shown]
	v_or3_b32 v20, v20, 0, 0
	s_delay_alu instid0(VALU_DEP_4) | instskip(NEXT) | instid1(VALU_DEP_1)
	v_or_b32_e32 v6, v6, v22
	v_or3_b32 v21, v6, v23, v21
.LBB1_336:                              ;   in Loop: Header=BB1_280 Depth=1
	s_or_b32 exec_lo, exec_lo, s0
	v_readfirstlane_b32 s0, v35
	v_mov_b32_e32 v30, 0
	v_mov_b32_e32 v31, 0
	s_delay_alu instid0(VALU_DEP_3) | instskip(NEXT) | instid1(VALU_DEP_1)
	v_cmp_eq_u32_e64 s0, s0, v35
	s_and_saveexec_b32 s1, s0
	s_cbranch_execz .LBB1_342
; %bb.337:                              ;   in Loop: Header=BB1_280 Depth=1
	global_load_b64 v[24:25], v7, s[2:3] offset:24 glc
	s_waitcnt vmcnt(0)
	buffer_gl1_inv
	buffer_gl0_inv
	s_clause 0x1
	global_load_b64 v[22:23], v7, s[2:3] offset:40
	global_load_b64 v[30:31], v7, s[2:3]
	s_mov_b32 s4, exec_lo
	s_waitcnt vmcnt(1)
	v_and_b32_e32 v6, v23, v25
	v_and_b32_e32 v22, v22, v24
	s_delay_alu instid0(VALU_DEP_2) | instskip(NEXT) | instid1(VALU_DEP_2)
	v_mul_lo_u32 v6, v6, 24
	v_mul_hi_u32 v23, v22, 24
	v_mul_lo_u32 v22, v22, 24
	s_delay_alu instid0(VALU_DEP_2) | instskip(SKIP_1) | instid1(VALU_DEP_2)
	v_add_nc_u32_e32 v6, v23, v6
	s_waitcnt vmcnt(0)
	v_add_co_u32 v22, vcc_lo, v30, v22
	s_delay_alu instid0(VALU_DEP_2)
	v_add_co_ci_u32_e32 v23, vcc_lo, v31, v6, vcc_lo
	global_load_b64 v[22:23], v[22:23], off glc
	s_waitcnt vmcnt(0)
	global_atomic_cmpswap_b64 v[30:31], v7, v[22:25], s[2:3] offset:24 glc
	s_waitcnt vmcnt(0)
	buffer_gl1_inv
	buffer_gl0_inv
	v_cmpx_ne_u64_e64 v[30:31], v[24:25]
	s_cbranch_execz .LBB1_341
; %bb.338:                              ;   in Loop: Header=BB1_280 Depth=1
	s_mov_b32 s5, 0
	.p2align	6
.LBB1_339:                              ;   Parent Loop BB1_280 Depth=1
                                        ; =>  This Inner Loop Header: Depth=2
	s_sleep 1
	s_clause 0x1
	global_load_b64 v[22:23], v7, s[2:3] offset:40
	global_load_b64 v[36:37], v7, s[2:3]
	v_dual_mov_b32 v24, v30 :: v_dual_mov_b32 v25, v31
	s_waitcnt vmcnt(1)
	s_delay_alu instid0(VALU_DEP_1) | instskip(NEXT) | instid1(VALU_DEP_2)
	v_and_b32_e32 v6, v22, v24
	v_and_b32_e32 v33, v23, v25
	s_waitcnt vmcnt(0)
	s_delay_alu instid0(VALU_DEP_2) | instskip(NEXT) | instid1(VALU_DEP_1)
	v_mad_u64_u32 v[30:31], null, v6, 24, v[36:37]
	v_mov_b32_e32 v6, v31
	s_delay_alu instid0(VALU_DEP_1) | instskip(NEXT) | instid1(VALU_DEP_1)
	v_mad_u64_u32 v[22:23], null, v33, 24, v[6:7]
	v_mov_b32_e32 v31, v22
	global_load_b64 v[22:23], v[30:31], off glc
	s_waitcnt vmcnt(0)
	global_atomic_cmpswap_b64 v[30:31], v7, v[22:25], s[2:3] offset:24 glc
	s_waitcnt vmcnt(0)
	buffer_gl1_inv
	buffer_gl0_inv
	v_cmp_eq_u64_e32 vcc_lo, v[30:31], v[24:25]
	s_or_b32 s5, vcc_lo, s5
	s_delay_alu instid0(SALU_CYCLE_1)
	s_and_not1_b32 exec_lo, exec_lo, s5
	s_cbranch_execnz .LBB1_339
; %bb.340:                              ;   in Loop: Header=BB1_280 Depth=1
	s_or_b32 exec_lo, exec_lo, s5
.LBB1_341:                              ;   in Loop: Header=BB1_280 Depth=1
	s_delay_alu instid0(SALU_CYCLE_1)
	s_or_b32 exec_lo, exec_lo, s4
.LBB1_342:                              ;   in Loop: Header=BB1_280 Depth=1
	s_delay_alu instid0(SALU_CYCLE_1)
	s_or_b32 exec_lo, exec_lo, s1
	s_clause 0x1
	global_load_b64 v[36:37], v7, s[2:3] offset:40
	global_load_b128 v[22:25], v7, s[2:3]
	v_readfirstlane_b32 s4, v30
	v_readfirstlane_b32 s5, v31
	s_mov_b32 s1, exec_lo
	s_waitcnt vmcnt(1)
	v_readfirstlane_b32 s6, v36
	v_readfirstlane_b32 s7, v37
	s_delay_alu instid0(VALU_DEP_1) | instskip(NEXT) | instid1(SALU_CYCLE_1)
	s_and_b64 s[6:7], s[4:5], s[6:7]
	s_mul_i32 s13, s7, 24
	s_mul_hi_u32 s14, s6, 24
	s_mul_i32 s15, s6, 24
	s_add_i32 s14, s14, s13
	s_waitcnt vmcnt(0)
	v_add_co_u32 v30, vcc_lo, v22, s15
	v_add_co_ci_u32_e32 v31, vcc_lo, s14, v23, vcc_lo
	s_and_saveexec_b32 s13, s0
	s_cbranch_execz .LBB1_344
; %bb.343:                              ;   in Loop: Header=BB1_280 Depth=1
	v_mov_b32_e32 v6, s1
	global_store_b128 v[30:31], v[6:9], off offset:8
.LBB1_344:                              ;   in Loop: Header=BB1_280 Depth=1
	s_or_b32 exec_lo, exec_lo, s13
	v_cmp_lt_u64_e32 vcc_lo, 56, v[26:27]
	v_or_b32_e32 v6, 0, v1
	v_or_b32_e32 v33, v0, v32
	v_lshl_add_u32 v36, v28, 2, 28
	s_lshl_b64 s[6:7], s[6:7], 12
	s_delay_alu instid0(SALU_CYCLE_1) | instskip(NEXT) | instid1(VALU_DEP_1)
	v_add_co_u32 v24, s1, v24, s6
	v_add_co_ci_u32_e64 v25, s1, s7, v25, s1
	v_dual_cndmask_b32 v1, v6, v1 :: v_dual_cndmask_b32 v0, v33, v0
	v_and_b32_e32 v6, 0x1e0, v36
	s_delay_alu instid0(VALU_DEP_4) | instskip(NEXT) | instid1(VALU_DEP_4)
	v_readfirstlane_b32 s6, v24
	v_readfirstlane_b32 s7, v25
	s_delay_alu instid0(VALU_DEP_3)
	v_and_or_b32 v0, 0xffffff1f, v0, v6
	s_clause 0x3
	global_store_b128 v34, v[0:3], s[6:7]
	global_store_b128 v34, v[10:13], s[6:7] offset:16
	global_store_b128 v34, v[14:17], s[6:7] offset:32
	;; [unrolled: 1-line block ×3, first 2 shown]
	s_and_saveexec_b32 s1, s0
	s_cbranch_execz .LBB1_352
; %bb.345:                              ;   in Loop: Header=BB1_280 Depth=1
	s_clause 0x1
	global_load_b64 v[14:15], v7, s[2:3] offset:32 glc
	global_load_b64 v[0:1], v7, s[2:3] offset:40
	v_dual_mov_b32 v12, s4 :: v_dual_mov_b32 v13, s5
	s_waitcnt vmcnt(0)
	v_readfirstlane_b32 s6, v0
	v_readfirstlane_b32 s7, v1
	s_delay_alu instid0(VALU_DEP_1) | instskip(NEXT) | instid1(SALU_CYCLE_1)
	s_and_b64 s[6:7], s[6:7], s[4:5]
	s_mul_i32 s7, s7, 24
	s_mul_hi_u32 s13, s6, 24
	s_mul_i32 s6, s6, 24
	s_add_i32 s13, s13, s7
	v_add_co_u32 v10, vcc_lo, v22, s6
	v_add_co_ci_u32_e32 v11, vcc_lo, s13, v23, vcc_lo
	s_mov_b32 s6, exec_lo
	global_store_b64 v[10:11], v[14:15], off
	s_waitcnt_vscnt null, 0x0
	global_atomic_cmpswap_b64 v[2:3], v7, v[12:15], s[2:3] offset:32 glc
	s_waitcnt vmcnt(0)
	v_cmpx_ne_u64_e64 v[2:3], v[14:15]
	s_cbranch_execz .LBB1_348
; %bb.346:                              ;   in Loop: Header=BB1_280 Depth=1
	s_mov_b32 s7, 0
.LBB1_347:                              ;   Parent Loop BB1_280 Depth=1
                                        ; =>  This Inner Loop Header: Depth=2
	v_dual_mov_b32 v0, s4 :: v_dual_mov_b32 v1, s5
	s_sleep 1
	global_store_b64 v[10:11], v[2:3], off
	s_waitcnt_vscnt null, 0x0
	global_atomic_cmpswap_b64 v[0:1], v7, v[0:3], s[2:3] offset:32 glc
	s_waitcnt vmcnt(0)
	v_cmp_eq_u64_e32 vcc_lo, v[0:1], v[2:3]
	v_dual_mov_b32 v3, v1 :: v_dual_mov_b32 v2, v0
	s_or_b32 s7, vcc_lo, s7
	s_delay_alu instid0(SALU_CYCLE_1)
	s_and_not1_b32 exec_lo, exec_lo, s7
	s_cbranch_execnz .LBB1_347
.LBB1_348:                              ;   in Loop: Header=BB1_280 Depth=1
	s_or_b32 exec_lo, exec_lo, s6
	global_load_b64 v[0:1], v7, s[2:3] offset:16
	s_mov_b32 s7, exec_lo
	s_mov_b32 s6, exec_lo
	v_mbcnt_lo_u32_b32 v2, s7, 0
	s_delay_alu instid0(VALU_DEP_1)
	v_cmpx_eq_u32_e32 0, v2
	s_cbranch_execz .LBB1_350
; %bb.349:                              ;   in Loop: Header=BB1_280 Depth=1
	s_bcnt1_i32_b32 s7, s7
	s_delay_alu instid0(SALU_CYCLE_1)
	v_mov_b32_e32 v6, s7
	s_waitcnt vmcnt(0)
	global_atomic_add_u64 v[0:1], v[6:7], off offset:8
.LBB1_350:                              ;   in Loop: Header=BB1_280 Depth=1
	s_or_b32 exec_lo, exec_lo, s6
	s_waitcnt vmcnt(0)
	global_load_b64 v[2:3], v[0:1], off offset:16
	s_waitcnt vmcnt(0)
	v_cmp_eq_u64_e32 vcc_lo, 0, v[2:3]
	s_cbranch_vccnz .LBB1_352
; %bb.351:                              ;   in Loop: Header=BB1_280 Depth=1
	global_load_b32 v6, v[0:1], off offset:24
	s_waitcnt vmcnt(0)
	v_and_b32_e32 v0, 0xffffff, v6
	s_waitcnt_vscnt null, 0x0
	global_store_b64 v[2:3], v[6:7], off
	v_readfirstlane_b32 m0, v0
	s_sendmsg sendmsg(MSG_INTERRUPT)
.LBB1_352:                              ;   in Loop: Header=BB1_280 Depth=1
	s_or_b32 exec_lo, exec_lo, s1
	v_add_co_u32 v0, vcc_lo, v24, v34
	v_add_co_ci_u32_e32 v1, vcc_lo, 0, v25, vcc_lo
	s_branch .LBB1_356
	.p2align	6
.LBB1_353:                              ;   in Loop: Header=BB1_356 Depth=2
	s_or_b32 exec_lo, exec_lo, s1
	s_delay_alu instid0(VALU_DEP_1) | instskip(NEXT) | instid1(VALU_DEP_1)
	v_readfirstlane_b32 s1, v2
	s_cmp_eq_u32 s1, 0
	s_cbranch_scc1 .LBB1_355
; %bb.354:                              ;   in Loop: Header=BB1_356 Depth=2
	s_sleep 1
	s_cbranch_execnz .LBB1_356
	s_branch .LBB1_358
	.p2align	6
.LBB1_355:                              ;   in Loop: Header=BB1_280 Depth=1
	s_branch .LBB1_358
.LBB1_356:                              ;   Parent Loop BB1_280 Depth=1
                                        ; =>  This Inner Loop Header: Depth=2
	v_mov_b32_e32 v2, 1
	s_and_saveexec_b32 s1, s0
	s_cbranch_execz .LBB1_353
; %bb.357:                              ;   in Loop: Header=BB1_356 Depth=2
	global_load_b32 v2, v[30:31], off offset:20 glc
	s_waitcnt vmcnt(0)
	buffer_gl1_inv
	buffer_gl0_inv
	v_and_b32_e32 v2, 1, v2
	s_branch .LBB1_353
.LBB1_358:                              ;   in Loop: Header=BB1_280 Depth=1
	global_load_b128 v[0:3], v[0:1], off
	s_and_saveexec_b32 s1, s0
	s_cbranch_execz .LBB1_279
; %bb.359:                              ;   in Loop: Header=BB1_280 Depth=1
	s_clause 0x2
	global_load_b64 v[2:3], v7, s[2:3] offset:40
	global_load_b64 v[14:15], v7, s[2:3] offset:24 glc
	global_load_b64 v[12:13], v7, s[2:3]
	s_waitcnt vmcnt(2)
	v_add_co_u32 v6, vcc_lo, v2, 1
	v_add_co_ci_u32_e32 v16, vcc_lo, 0, v3, vcc_lo
	s_delay_alu instid0(VALU_DEP_2) | instskip(NEXT) | instid1(VALU_DEP_2)
	v_add_co_u32 v10, vcc_lo, v6, s4
	v_add_co_ci_u32_e32 v11, vcc_lo, s5, v16, vcc_lo
	s_delay_alu instid0(VALU_DEP_1) | instskip(SKIP_1) | instid1(VALU_DEP_1)
	v_cmp_eq_u64_e32 vcc_lo, 0, v[10:11]
	v_dual_cndmask_b32 v11, v11, v16 :: v_dual_cndmask_b32 v10, v10, v6
	v_and_b32_e32 v3, v11, v3
	s_delay_alu instid0(VALU_DEP_2) | instskip(NEXT) | instid1(VALU_DEP_1)
	v_and_b32_e32 v2, v10, v2
	v_mul_hi_u32 v6, v2, 24
	v_mul_lo_u32 v2, v2, 24
	s_waitcnt vmcnt(0)
	s_delay_alu instid0(VALU_DEP_1) | instskip(SKIP_2) | instid1(VALU_DEP_1)
	v_add_co_u32 v2, vcc_lo, v12, v2
	v_mov_b32_e32 v12, v14
	v_mul_lo_u32 v3, v3, 24
	v_add_nc_u32_e32 v3, v6, v3
	s_delay_alu instid0(VALU_DEP_1)
	v_add_co_ci_u32_e32 v3, vcc_lo, v13, v3, vcc_lo
	v_mov_b32_e32 v13, v15
	global_store_b64 v[2:3], v[14:15], off
	s_waitcnt_vscnt null, 0x0
	global_atomic_cmpswap_b64 v[12:13], v7, v[10:13], s[2:3] offset:24 glc
	s_waitcnt vmcnt(0)
	v_cmp_ne_u64_e32 vcc_lo, v[12:13], v[14:15]
	s_and_b32 exec_lo, exec_lo, vcc_lo
	s_cbranch_execz .LBB1_279
; %bb.360:                              ;   in Loop: Header=BB1_280 Depth=1
	s_mov_b32 s0, 0
.LBB1_361:                              ;   Parent Loop BB1_280 Depth=1
                                        ; =>  This Inner Loop Header: Depth=2
	s_sleep 1
	global_store_b64 v[2:3], v[12:13], off
	s_waitcnt_vscnt null, 0x0
	global_atomic_cmpswap_b64 v[14:15], v7, v[10:13], s[2:3] offset:24 glc
	s_waitcnt vmcnt(0)
	v_cmp_eq_u64_e32 vcc_lo, v[14:15], v[12:13]
	v_dual_mov_b32 v12, v14 :: v_dual_mov_b32 v13, v15
	s_or_b32 s0, vcc_lo, s0
	s_delay_alu instid0(SALU_CYCLE_1)
	s_and_not1_b32 exec_lo, exec_lo, s0
	s_cbranch_execnz .LBB1_361
	s_branch .LBB1_279
.LBB1_362:
	s_or_b32 exec_lo, exec_lo, s11
                                        ; implicit-def: $vgpr34
                                        ; implicit-def: $vgpr35
.LBB1_363:
	s_and_not1_saveexec_b32 s1, s10
	s_cbranch_execz .LBB1_391
; %bb.364:
	v_readfirstlane_b32 s0, v35
	v_mov_b32_e32 v8, 0
	v_mov_b32_e32 v9, 0
	s_delay_alu instid0(VALU_DEP_3) | instskip(NEXT) | instid1(VALU_DEP_1)
	v_cmp_eq_u32_e64 s0, s0, v35
	s_and_saveexec_b32 s4, s0
	s_cbranch_execz .LBB1_370
; %bb.365:
	s_waitcnt vmcnt(0)
	v_mov_b32_e32 v2, 0
	s_mov_b32 s5, exec_lo
	global_load_b64 v[5:6], v2, s[2:3] offset:24 glc
	s_waitcnt vmcnt(0)
	buffer_gl1_inv
	buffer_gl0_inv
	s_clause 0x1
	global_load_b64 v[3:4], v2, s[2:3] offset:40
	global_load_b64 v[7:8], v2, s[2:3]
	s_waitcnt vmcnt(1)
	v_and_b32_e32 v3, v3, v5
	v_and_b32_e32 v4, v4, v6
	s_delay_alu instid0(VALU_DEP_2) | instskip(NEXT) | instid1(VALU_DEP_2)
	v_mul_hi_u32 v9, v3, 24
	v_mul_lo_u32 v4, v4, 24
	v_mul_lo_u32 v3, v3, 24
	s_delay_alu instid0(VALU_DEP_2) | instskip(SKIP_1) | instid1(VALU_DEP_2)
	v_add_nc_u32_e32 v4, v9, v4
	s_waitcnt vmcnt(0)
	v_add_co_u32 v3, vcc_lo, v7, v3
	s_delay_alu instid0(VALU_DEP_2)
	v_add_co_ci_u32_e32 v4, vcc_lo, v8, v4, vcc_lo
	global_load_b64 v[3:4], v[3:4], off glc
	s_waitcnt vmcnt(0)
	global_atomic_cmpswap_b64 v[8:9], v2, v[3:6], s[2:3] offset:24 glc
	s_waitcnt vmcnt(0)
	buffer_gl1_inv
	buffer_gl0_inv
	v_cmpx_ne_u64_e64 v[8:9], v[5:6]
	s_cbranch_execz .LBB1_369
; %bb.366:
	s_mov_b32 s6, 0
	.p2align	6
.LBB1_367:                              ; =>This Inner Loop Header: Depth=1
	s_sleep 1
	s_clause 0x1
	global_load_b64 v[3:4], v2, s[2:3] offset:40
	global_load_b64 v[10:11], v2, s[2:3]
	v_dual_mov_b32 v5, v8 :: v_dual_mov_b32 v6, v9
	s_waitcnt vmcnt(1)
	s_delay_alu instid0(VALU_DEP_1) | instskip(NEXT) | instid1(VALU_DEP_2)
	v_and_b32_e32 v3, v3, v5
	v_and_b32_e32 v4, v4, v6
	s_waitcnt vmcnt(0)
	s_delay_alu instid0(VALU_DEP_2) | instskip(NEXT) | instid1(VALU_DEP_1)
	v_mad_u64_u32 v[7:8], null, v3, 24, v[10:11]
	v_mov_b32_e32 v3, v8
	s_delay_alu instid0(VALU_DEP_1)
	v_mad_u64_u32 v[8:9], null, v4, 24, v[3:4]
	global_load_b64 v[3:4], v[7:8], off glc
	s_waitcnt vmcnt(0)
	global_atomic_cmpswap_b64 v[8:9], v2, v[3:6], s[2:3] offset:24 glc
	s_waitcnt vmcnt(0)
	buffer_gl1_inv
	buffer_gl0_inv
	v_cmp_eq_u64_e32 vcc_lo, v[8:9], v[5:6]
	s_or_b32 s6, vcc_lo, s6
	s_delay_alu instid0(SALU_CYCLE_1)
	s_and_not1_b32 exec_lo, exec_lo, s6
	s_cbranch_execnz .LBB1_367
; %bb.368:
	s_or_b32 exec_lo, exec_lo, s6
.LBB1_369:
	s_delay_alu instid0(SALU_CYCLE_1)
	s_or_b32 exec_lo, exec_lo, s5
.LBB1_370:
	s_delay_alu instid0(SALU_CYCLE_1)
	s_or_b32 exec_lo, exec_lo, s4
	s_waitcnt vmcnt(0)
	v_mov_b32_e32 v2, 0
	v_readfirstlane_b32 s4, v8
	v_readfirstlane_b32 s5, v9
	s_mov_b32 s10, exec_lo
	s_clause 0x1
	global_load_b64 v[10:11], v2, s[2:3] offset:40
	global_load_b128 v[4:7], v2, s[2:3]
	s_waitcnt vmcnt(1)
	v_readfirstlane_b32 s6, v10
	v_readfirstlane_b32 s7, v11
	s_delay_alu instid0(VALU_DEP_1) | instskip(NEXT) | instid1(SALU_CYCLE_1)
	s_and_b64 s[6:7], s[4:5], s[6:7]
	s_mul_i32 s11, s7, 24
	s_mul_hi_u32 s12, s6, 24
	s_mul_i32 s13, s6, 24
	s_add_i32 s12, s12, s11
	s_waitcnt vmcnt(0)
	v_add_co_u32 v8, vcc_lo, v4, s13
	v_add_co_ci_u32_e32 v9, vcc_lo, s12, v5, vcc_lo
	s_and_saveexec_b32 s11, s0
	s_cbranch_execz .LBB1_372
; %bb.371:
	v_dual_mov_b32 v10, s10 :: v_dual_mov_b32 v11, v2
	v_dual_mov_b32 v12, 2 :: v_dual_mov_b32 v13, 1
	global_store_b128 v[8:9], v[10:13], off offset:8
.LBB1_372:
	s_or_b32 exec_lo, exec_lo, s11
	s_lshl_b64 s[6:7], s[6:7], 12
	s_mov_b32 s12, 0
	v_add_co_u32 v6, vcc_lo, v6, s6
	v_add_co_ci_u32_e32 v7, vcc_lo, s7, v7, vcc_lo
	s_mov_b32 s13, s12
	s_delay_alu instid0(VALU_DEP_2)
	v_readfirstlane_b32 s6, v6
	v_add_co_u32 v6, vcc_lo, v6, v34
	s_mov_b32 s14, s12
	s_mov_b32 s15, s12
	v_and_or_b32 v0, 0xffffff1f, v0, 32
	v_dual_mov_b32 v3, v2 :: v_dual_mov_b32 v10, s12
	v_readfirstlane_b32 s7, v7
	v_add_co_ci_u32_e32 v7, vcc_lo, 0, v7, vcc_lo
	v_dual_mov_b32 v11, s13 :: v_dual_mov_b32 v12, s14
	v_mov_b32_e32 v13, s15
	s_clause 0x3
	global_store_b128 v34, v[0:3], s[6:7]
	global_store_b128 v34, v[10:13], s[6:7] offset:16
	global_store_b128 v34, v[10:13], s[6:7] offset:32
	;; [unrolled: 1-line block ×3, first 2 shown]
	s_and_saveexec_b32 s6, s0
	s_cbranch_execz .LBB1_380
; %bb.373:
	v_dual_mov_b32 v10, 0 :: v_dual_mov_b32 v11, s4
	v_mov_b32_e32 v12, s5
	s_clause 0x1
	global_load_b64 v[13:14], v10, s[2:3] offset:32 glc
	global_load_b64 v[0:1], v10, s[2:3] offset:40
	s_waitcnt vmcnt(0)
	v_readfirstlane_b32 s10, v0
	v_readfirstlane_b32 s11, v1
	s_delay_alu instid0(VALU_DEP_1) | instskip(NEXT) | instid1(SALU_CYCLE_1)
	s_and_b64 s[10:11], s[10:11], s[4:5]
	s_mul_i32 s7, s11, 24
	s_mul_hi_u32 s11, s10, 24
	s_mul_i32 s10, s10, 24
	s_add_i32 s11, s11, s7
	v_add_co_u32 v4, vcc_lo, v4, s10
	v_add_co_ci_u32_e32 v5, vcc_lo, s11, v5, vcc_lo
	s_mov_b32 s7, exec_lo
	global_store_b64 v[4:5], v[13:14], off
	s_waitcnt_vscnt null, 0x0
	global_atomic_cmpswap_b64 v[2:3], v10, v[11:14], s[2:3] offset:32 glc
	s_waitcnt vmcnt(0)
	v_cmpx_ne_u64_e64 v[2:3], v[13:14]
	s_cbranch_execz .LBB1_376
; %bb.374:
	s_mov_b32 s10, 0
.LBB1_375:                              ; =>This Inner Loop Header: Depth=1
	v_dual_mov_b32 v0, s4 :: v_dual_mov_b32 v1, s5
	s_sleep 1
	global_store_b64 v[4:5], v[2:3], off
	s_waitcnt_vscnt null, 0x0
	global_atomic_cmpswap_b64 v[0:1], v10, v[0:3], s[2:3] offset:32 glc
	s_waitcnt vmcnt(0)
	v_cmp_eq_u64_e32 vcc_lo, v[0:1], v[2:3]
	v_dual_mov_b32 v3, v1 :: v_dual_mov_b32 v2, v0
	s_or_b32 s10, vcc_lo, s10
	s_delay_alu instid0(SALU_CYCLE_1)
	s_and_not1_b32 exec_lo, exec_lo, s10
	s_cbranch_execnz .LBB1_375
.LBB1_376:
	s_or_b32 exec_lo, exec_lo, s7
	v_mov_b32_e32 v3, 0
	s_mov_b32 s10, exec_lo
	s_mov_b32 s7, exec_lo
	v_mbcnt_lo_u32_b32 v2, s10, 0
	global_load_b64 v[0:1], v3, s[2:3] offset:16
	v_cmpx_eq_u32_e32 0, v2
	s_cbranch_execz .LBB1_378
; %bb.377:
	s_bcnt1_i32_b32 s10, s10
	s_delay_alu instid0(SALU_CYCLE_1)
	v_mov_b32_e32 v2, s10
	s_waitcnt vmcnt(0)
	global_atomic_add_u64 v[0:1], v[2:3], off offset:8
.LBB1_378:
	s_or_b32 exec_lo, exec_lo, s7
	s_waitcnt vmcnt(0)
	global_load_b64 v[2:3], v[0:1], off offset:16
	s_waitcnt vmcnt(0)
	v_cmp_eq_u64_e32 vcc_lo, 0, v[2:3]
	s_cbranch_vccnz .LBB1_380
; %bb.379:
	global_load_b32 v0, v[0:1], off offset:24
	s_waitcnt vmcnt(0)
	v_dual_mov_b32 v1, 0 :: v_dual_and_b32 v4, 0xffffff, v0
	s_waitcnt_vscnt null, 0x0
	global_store_b64 v[2:3], v[0:1], off
	v_readfirstlane_b32 m0, v4
	s_sendmsg sendmsg(MSG_INTERRUPT)
.LBB1_380:
	s_or_b32 exec_lo, exec_lo, s6
	s_branch .LBB1_384
	.p2align	6
.LBB1_381:                              ;   in Loop: Header=BB1_384 Depth=1
	s_or_b32 exec_lo, exec_lo, s6
	s_delay_alu instid0(VALU_DEP_1) | instskip(NEXT) | instid1(VALU_DEP_1)
	v_readfirstlane_b32 s6, v0
	s_cmp_eq_u32 s6, 0
	s_cbranch_scc1 .LBB1_383
; %bb.382:                              ;   in Loop: Header=BB1_384 Depth=1
	s_sleep 1
	s_cbranch_execnz .LBB1_384
	s_branch .LBB1_386
	.p2align	6
.LBB1_383:
	s_branch .LBB1_386
.LBB1_384:                              ; =>This Inner Loop Header: Depth=1
	v_mov_b32_e32 v0, 1
	s_and_saveexec_b32 s6, s0
	s_cbranch_execz .LBB1_381
; %bb.385:                              ;   in Loop: Header=BB1_384 Depth=1
	global_load_b32 v0, v[8:9], off offset:20 glc
	s_waitcnt vmcnt(0)
	buffer_gl1_inv
	buffer_gl0_inv
	v_and_b32_e32 v0, 1, v0
	s_branch .LBB1_381
.LBB1_386:
	global_load_b64 v[0:1], v[6:7], off
	s_and_saveexec_b32 s6, s0
	s_cbranch_execz .LBB1_390
; %bb.387:
	v_mov_b32_e32 v8, 0
	s_clause 0x2
	global_load_b64 v[4:5], v8, s[2:3] offset:40
	global_load_b64 v[9:10], v8, s[2:3] offset:24 glc
	global_load_b64 v[6:7], v8, s[2:3]
	s_waitcnt vmcnt(2)
	v_add_co_u32 v11, vcc_lo, v4, 1
	v_add_co_ci_u32_e32 v12, vcc_lo, 0, v5, vcc_lo
	s_delay_alu instid0(VALU_DEP_2) | instskip(NEXT) | instid1(VALU_DEP_2)
	v_add_co_u32 v2, vcc_lo, v11, s4
	v_add_co_ci_u32_e32 v3, vcc_lo, s5, v12, vcc_lo
	s_delay_alu instid0(VALU_DEP_1) | instskip(SKIP_1) | instid1(VALU_DEP_1)
	v_cmp_eq_u64_e32 vcc_lo, 0, v[2:3]
	v_dual_cndmask_b32 v3, v3, v12 :: v_dual_cndmask_b32 v2, v2, v11
	v_and_b32_e32 v5, v3, v5
	s_delay_alu instid0(VALU_DEP_2) | instskip(NEXT) | instid1(VALU_DEP_2)
	v_and_b32_e32 v4, v2, v4
	v_mul_lo_u32 v5, v5, 24
	s_delay_alu instid0(VALU_DEP_2) | instskip(SKIP_1) | instid1(VALU_DEP_2)
	v_mul_hi_u32 v11, v4, 24
	v_mul_lo_u32 v4, v4, 24
	v_add_nc_u32_e32 v5, v11, v5
	s_waitcnt vmcnt(0)
	s_delay_alu instid0(VALU_DEP_2) | instskip(SKIP_1) | instid1(VALU_DEP_3)
	v_add_co_u32 v6, vcc_lo, v6, v4
	v_mov_b32_e32 v4, v9
	v_add_co_ci_u32_e32 v7, vcc_lo, v7, v5, vcc_lo
	v_mov_b32_e32 v5, v10
	global_store_b64 v[6:7], v[9:10], off
	s_waitcnt_vscnt null, 0x0
	global_atomic_cmpswap_b64 v[4:5], v8, v[2:5], s[2:3] offset:24 glc
	s_waitcnt vmcnt(0)
	v_cmp_ne_u64_e32 vcc_lo, v[4:5], v[9:10]
	s_and_b32 exec_lo, exec_lo, vcc_lo
	s_cbranch_execz .LBB1_390
; %bb.388:
	s_mov_b32 s0, 0
.LBB1_389:                              ; =>This Inner Loop Header: Depth=1
	s_sleep 1
	global_store_b64 v[6:7], v[4:5], off
	s_waitcnt_vscnt null, 0x0
	global_atomic_cmpswap_b64 v[9:10], v8, v[2:5], s[2:3] offset:24 glc
	s_waitcnt vmcnt(0)
	v_cmp_eq_u64_e32 vcc_lo, v[9:10], v[4:5]
	v_dual_mov_b32 v4, v9 :: v_dual_mov_b32 v5, v10
	s_or_b32 s0, vcc_lo, s0
	s_delay_alu instid0(SALU_CYCLE_1)
	s_and_not1_b32 exec_lo, exec_lo, s0
	s_cbranch_execnz .LBB1_389
.LBB1_390:
	s_or_b32 exec_lo, exec_lo, s6
.LBB1_391:
	s_delay_alu instid0(SALU_CYCLE_1)
	s_or_b32 exec_lo, exec_lo, s1
	s_getpc_b64 s[0:1]
	s_add_u32 s0, s0, .str.1@rel32@lo+4
	s_addc_u32 s1, s1, .str.1@rel32@hi+12
	s_getpc_b64 s[2:3]
	s_add_u32 s2, s2, .str.1@rel32@lo+32
	s_addc_u32 s3, s3, .str.1@rel32@hi+40
	s_sub_i32 s4, s2, s0
	s_getpc_b64 s[2:3]
	s_add_u32 s2, s2, __ockl_fprintf_append_string_n@rel32@lo+4
	s_addc_u32 s3, s3, __ockl_fprintf_append_string_n@rel32@hi+12
	s_ashr_i32 s5, s4, 31
	s_waitcnt vmcnt(0)
	v_dual_mov_b32 v2, s0 :: v_dual_mov_b32 v3, s1
	v_dual_mov_b32 v4, s4 :: v_dual_mov_b32 v5, s5
	v_mov_b32_e32 v6, 1
	s_swappc_b64 s[30:31], s[2:3]
	s_trap 2
	s_sendmsg_rtn_b32 s0, sendmsg(MSG_RTN_GET_DOORBELL)
	s_mov_b32 ttmp2, m0
	s_waitcnt lgkmcnt(0)
	s_and_b32 s0, s0, 0x3ff
	s_delay_alu instid0(SALU_CYCLE_1) | instskip(NEXT) | instid1(SALU_CYCLE_1)
	s_bitset1_b32 s0, 10
	s_mov_b32 m0, s0
	s_sendmsg sendmsg(MSG_INTERRUPT)
	s_mov_b32 m0, ttmp2
.LBB1_392:                              ; =>This Inner Loop Header: Depth=1
	s_sethalt 5
	s_branch .LBB1_392
.Lfunc_end1:
	.size	__assert_fail, .Lfunc_end1-__assert_fail
                                        ; -- End function
	.section	.AMDGPU.csdata,"",@progbits
; Function info:
; codeLenInByte = 16148
; NumSgprs: 36
; NumVgprs: 41
; ScratchSize: 64
; MemoryBound: 0
	.text
	.p2align	2                               ; -- Begin function _ZN12_GLOBAL__N_17runRingI6__half10FuncMinMaxIS1_E11ProtoSimpleILi1ELi1ELi0ELi1ELi0ELi0EELi0ELi1ELi0EEEviiP15ncclDevWorkColl
	.type	_ZN12_GLOBAL__N_17runRingI6__half10FuncMinMaxIS1_E11ProtoSimpleILi1ELi1ELi0ELi1ELi0ELi0EELi0ELi1ELi0EEEviiP15ncclDevWorkColl,@function
_ZN12_GLOBAL__N_17runRingI6__half10FuncMinMaxIS1_E11ProtoSimpleILi1ELi1ELi0ELi1ELi0ELi0EELi0ELi1ELi0EEEviiP15ncclDevWorkColl: ; @_ZN12_GLOBAL__N_17runRingI6__half10FuncMinMaxIS1_E11ProtoSimpleILi1ELi1ELi0ELi1ELi0ELi0EELi0ELi1ELi0EEEviiP15ncclDevWorkColl
; %bb.0:
	s_waitcnt vmcnt(0) expcnt(0) lgkmcnt(0)
	s_mov_b32 s0, s33
	s_mov_b32 s33, s32
	s_or_saveexec_b32 s1, -1
	scratch_store_b32 off, v41, s33 offset:4 ; 4-byte Folded Spill
	s_mov_b32 exec_lo, s1
	v_writelane_b32 v41, s0, 2
	s_add_i32 s32, s32, 16
	scratch_store_b32 off, v40, s33         ; 4-byte Folded Spill
	v_writelane_b32 v41, s30, 0
	v_writelane_b32 v41, s31, 1
	s_cbranch_execnz .LBB2_1160
; %bb.1:
	ds_load_b64 v[14:15], v0
	ds_load_b32 v9, v0
	flat_load_b64 v[6:7], v[2:3]
	s_mov_b32 s0, exec_lo
                                        ; implicit-def: $vgpr17_vgpr18
                                        ; implicit-def: $vgpr34_vgpr35
	s_waitcnt lgkmcnt(2)
	v_ashrrev_i32_e32 v5, 31, v15
	v_mov_b32_e32 v4, v15
	s_delay_alu instid0(VALU_DEP_1) | instskip(NEXT) | instid1(VALU_DEP_1)
	v_lshlrev_b64 v[4:5], 2, v[4:5]
	v_add_co_u32 v4, vcc_lo, v14, v4
	s_delay_alu instid0(VALU_DEP_2) | instskip(NEXT) | instid1(VALU_DEP_2)
	v_add_co_ci_u32_e32 v5, vcc_lo, v15, v5, vcc_lo
	v_add_co_u32 v4, vcc_lo, -4, v4
	s_delay_alu instid0(VALU_DEP_2) | instskip(SKIP_4) | instid1(VALU_DEP_1)
	v_add_co_ci_u32_e32 v5, vcc_lo, -1, v5, vcc_lo
	flat_load_u16 v16, v[2:3] offset:8
	flat_load_b32 v36, v[4:5]
                                        ; implicit-def: $vgpr4_vgpr5
	s_waitcnt vmcnt(2) lgkmcnt(2)
	v_dual_mov_b32 v15, v7 :: v_dual_and_b32 v8, 0xff, v6
	v_cmpx_ne_u32_e64 v8, v9
	s_xor_b32 s0, exec_lo, s0
	s_cbranch_execnz .LBB2_1162
; %bb.2:
	s_and_not1_saveexec_b32 s0, s0
	s_cbranch_execnz .LBB2_1167
.LBB2_3:
	s_or_b32 exec_lo, exec_lo, s0
	s_cbranch_execnz .LBB2_1168
.LBB2_4:
	ds_load_b64 v[6:7], v0
	s_mov_b32 s1, exec_lo
	s_waitcnt lgkmcnt(0)
	v_cmp_ne_u32_e32 vcc_lo, -1, v6
	v_cndmask_b32_e64 v37, 0, 1, vcc_lo
	v_cmp_ne_u32_e32 vcc_lo, -1, v7
	s_delay_alu instid0(VALU_DEP_2) | instskip(NEXT) | instid1(VALU_DEP_1)
	v_add_co_ci_u32_e64 v6, s0, 0, v37, vcc_lo
	v_lshlrev_b32_e32 v7, 1, v6
	s_delay_alu instid0(VALU_DEP_1)
	v_cmpx_le_i32_e64 v7, v1
	s_xor_b32 s15, exec_lo, s1
	s_cbranch_execz .LBB2_1371
; %bb.5:
	s_clause 0x1
	flat_load_b128 v[10:13], v[2:3] offset:16
	flat_load_b64 v[26:27], v[2:3] offset:104
	s_cbranch_execnz .LBB2_1170
; %bb.6:
	s_load_b32 s0, s[8:9], 0x0
	v_mov_b32_e32 v2, 0
	v_mov_b32_e32 v30, 4
	s_mov_b32 s2, exec_lo
	s_waitcnt lgkmcnt(0)
	s_cmp_lt_u32 s12, s0
	s_cselect_b32 s0, 12, 18
	s_delay_alu instid0(SALU_CYCLE_1)
	s_add_u32 s0, s8, s0
	s_addc_u32 s1, s9, 0
	global_load_u16 v38, v2, s[0:1]
	ds_load_b32 v2, v0
	s_waitcnt lgkmcnt(0)
	v_readfirstlane_b32 s1, v2
	v_cmpx_ge_i32_e64 v0, v37
	s_cbranch_execz .LBB2_16
; %bb.7:
	v_cmp_le_u32_e64 s0, v6, v0
                                        ; implicit-def: $vgpr30
	s_delay_alu instid0(VALU_DEP_1) | instskip(NEXT) | instid1(SALU_CYCLE_1)
	s_and_saveexec_b32 s3, s0
	s_xor_b32 s0, exec_lo, s3
	s_cbranch_execz .LBB2_13
; %bb.8:
	v_cndmask_b32_e64 v2, 0, 1, vcc_lo
	s_mov_b32 s3, exec_lo
                                        ; implicit-def: $sgpr4
	s_delay_alu instid0(VALU_DEP_1) | instskip(NEXT) | instid1(VALU_DEP_1)
	v_sub_nc_u32_e32 v2, v1, v2
	v_cmpx_ge_u32_e64 v0, v2
	s_xor_b32 s3, exec_lo, s3
; %bb.9:
	s_mov_b32 s4, 16
                                        ; implicit-def: $vgpr6
; %bb.10:
	s_or_saveexec_b32 s3, s3
	v_mov_b32_e32 v30, s4
	s_xor_b32 exec_lo, exec_lo, s3
; %bb.11:
	v_sub_nc_u32_e32 v2, v1, v6
	s_delay_alu instid0(VALU_DEP_1) | instskip(SKIP_1) | instid1(VALU_DEP_1)
	v_cmp_ge_i32_e32 vcc_lo, v0, v2
	v_cndmask_b32_e64 v2, 0, 1, vcc_lo
	v_lshlrev_b32_e32 v30, 5, v2
; %bb.12:
	s_or_b32 exec_lo, exec_lo, s3
.LBB2_13:
	s_and_not1_saveexec_b32 s0, s0
; %bb.14:
	v_mov_b32_e32 v30, 8
; %bb.15:
	s_or_b32 exec_lo, exec_lo, s0
.LBB2_16:
	s_delay_alu instid0(SALU_CYCLE_1) | instskip(NEXT) | instid1(VALU_DEP_1)
	s_or_b32 exec_lo, exec_lo, s2
	v_and_b32_e32 v2, 36, v30
	v_mov_b32_e32 v28, -1
	s_delay_alu instid0(VALU_DEP_2)
	v_cmp_ne_u32_e32 vcc_lo, 0, v2
	s_and_saveexec_b32 s0, vcc_lo
	s_cbranch_execz .LBB2_19
; %bb.17:
	s_cbranch_execnz .LBB2_1172
; %bb.18:
	ds_load_b32 v28, v0
.LBB2_19:
	s_or_b32 exec_lo, exec_lo, s0
	v_and_b32_e32 v2, 24, v30
	s_mov_b32 s2, exec_lo
	s_delay_alu instid0(VALU_DEP_1)
	v_cmpx_ne_u32_e32 0, v2
	s_cbranch_execz .LBB2_22
; %bb.20:
	s_cbranch_execnz .LBB2_1174
; %bb.21:
	s_waitcnt lgkmcnt(0)
	ds_load_b32 v28, v0
.LBB2_22:
	s_or_b32 exec_lo, exec_lo, s2
	s_waitcnt vmcnt(4)
	v_lshrrev_b64 v[2:3], 31, v[15:16]
	v_mov_b32_e32 v18, 0
	v_mov_b32_e32 v19, 0
                                        ; implicit-def: $vgpr65
                                        ; implicit-def: $vgpr24_vgpr25
                                        ; implicit-def: $vgpr22_vgpr23
                                        ; implicit-def: $vgpr20_vgpr21
	s_delay_alu instid0(VALU_DEP_3) | instskip(NEXT) | instid1(VALU_DEP_2)
	v_and_b32_e32 v16, 3, v2
	v_dual_mov_b32 v6, v18 :: v_dual_mov_b32 v7, v19
                                        ; implicit-def: $vgpr2_vgpr3
	s_and_saveexec_b32 s0, vcc_lo
	s_cbranch_execz .LBB2_35
; %bb.23:
	s_cbranch_execnz .LBB2_1176
; %bb.24:
	ds_load_b64 v[2:3], v0
	s_waitcnt lgkmcnt(1)
	v_ashrrev_i32_e32 v29, 31, v28
	v_and_b32_e32 v8, 0xffff, v16
	s_delay_alu instid0(VALU_DEP_2) | instskip(SKIP_1) | instid1(VALU_DEP_1)
	v_lshlrev_b64 v[6:7], 3, v[28:29]
	s_waitcnt lgkmcnt(0)
	v_add_co_u32 v2, vcc_lo, v2, v6
	s_delay_alu instid0(VALU_DEP_2)
	v_add_co_ci_u32_e32 v3, vcc_lo, v3, v7, vcc_lo
	flat_load_b64 v[2:3], v[2:3]
	s_waitcnt vmcnt(0) lgkmcnt(0)
	v_mad_u64_u32 v[6:7], null, 0xa8, v8, v[2:3]
	flat_load_b32 v2, v[6:7] offset:640
	v_add_co_u32 v18, vcc_lo, 0x1f8, v6
	v_add_co_ci_u32_e32 v19, vcc_lo, 0, v7, vcc_lo
	s_waitcnt vmcnt(0) lgkmcnt(0)
	v_cmp_eq_u32_e32 vcc_lo, 1, v2
                                        ; implicit-def: $vgpr2_vgpr3
	s_and_saveexec_b32 s2, vcc_lo
	s_cbranch_execz .LBB2_27
; %bb.25:
	flat_load_b64 v[2:3], v[18:19] offset:144
	s_waitcnt vmcnt(0) lgkmcnt(0)
	flat_load_b64 v[6:7], v[2:3]
	s_cbranch_execnz .LBB2_1182
; %bb.26:
	s_waitcnt vmcnt(0) lgkmcnt(0)
	ds_store_b64 v0, v[6:7]
	flat_load_b64 v[6:7], v[2:3] offset:8
	v_or_b32_e32 v30, 0x2000, v30
	s_waitcnt vmcnt(0) lgkmcnt(0)
	ds_store_b64 v0, v[6:7]
	flat_load_b64 v[6:7], v[2:3] offset:16
	s_waitcnt vmcnt(0) lgkmcnt(0)
	ds_store_b64 v0, v[6:7]
.LBB2_27:
	s_or_b32 exec_lo, exec_lo, s2
	flat_load_b64 v[8:9], v[18:19] offset:104
	v_and_b32_e32 v6, 32, v30
	s_mov_b32 s2, exec_lo
                                        ; implicit-def: $vgpr20_vgpr21
	s_delay_alu instid0(VALU_DEP_1)
	v_cmpx_ne_u32_e32 0, v6
	s_cbranch_execz .LBB2_29
; %bb.28:
	flat_load_b64 v[20:21], v[18:19] offset:56
	s_waitcnt vmcnt(0) lgkmcnt(0)
	s_waitcnt_vscnt null, 0x0
	flat_store_b64 v[20:21], v[8:9]
.LBB2_29:
	s_or_b32 exec_lo, exec_lo, s2
	v_and_b32_e32 v22, 4, v30
	v_mov_b32_e32 v6, 0
	v_mov_b32_e32 v7, 0
                                        ; implicit-def: $vgpr65
                                        ; implicit-def: $vgpr24_vgpr25
	s_delay_alu instid0(VALU_DEP_3)
	v_cmp_ne_u32_e32 vcc_lo, 0, v22
                                        ; implicit-def: $vgpr22_vgpr23
	s_and_saveexec_b32 s2, vcc_lo
	s_cbranch_execz .LBB2_34
; %bb.30:
	v_and_b32_e32 v6, 0x800, v30
	s_mov_b32 s3, exec_lo
	s_delay_alu instid0(VALU_DEP_1)
	v_cmpx_eq_u32_e32 0, v6
	s_cbranch_execz .LBB2_33
; %bb.31:
	s_cbranch_execnz .LBB2_1186
; %bb.32:
	ds_store_b64 v0, v[18:19]
.LBB2_33:
	s_or_b32 exec_lo, exec_lo, s3
	flat_load_b64 v[20:21], v[18:19] offset:48
	v_or_b32_e32 v32, 0x100, v30
	s_waitcnt vmcnt(0) lgkmcnt(0)
	flat_load_b64 v[24:25], v[20:21] glc
	s_clause 0x2
	flat_load_b32 v29, v[18:19] offset:72
	flat_load_b64 v[6:7], v[18:19] offset:96
	flat_load_b64 v[22:23], v[18:19] offset:16
	s_waitcnt vmcnt(2) lgkmcnt(2)
	v_ashrrev_i32_e32 v65, 1, v29
	s_waitcnt vmcnt(1) lgkmcnt(1)
	v_cmp_eq_u64_e32 vcc_lo, 0, v[6:7]
	v_cndmask_b32_e32 v30, v32, v30, vcc_lo
.LBB2_34:
	s_or_b32 exec_lo, exec_lo, s2
.LBB2_35:
	s_delay_alu instid0(SALU_CYCLE_1) | instskip(NEXT) | instid1(VALU_DEP_1)
	s_or_b32 exec_lo, exec_lo, s0
	v_and_b32_e32 v29, 24, v30
	s_mov_b32 s0, exec_lo
                                        ; implicit-def: $vgpr32_vgpr33
	s_delay_alu instid0(VALU_DEP_1)
	v_cmpx_ne_u32_e32 0, v29
	s_cbranch_execz .LBB2_45
; %bb.36:
	s_cbranch_execnz .LBB2_1178
; %bb.37:
	ds_load_b64 v[6:7], v0
	s_waitcnt lgkmcnt(1)
	v_ashrrev_i32_e32 v29, 31, v28
	s_mov_b32 s2, exec_lo
                                        ; implicit-def: $vgpr32_vgpr33
	s_waitcnt vmcnt(0)
	s_delay_alu instid0(VALU_DEP_1) | instskip(SKIP_1) | instid1(VALU_DEP_1)
	v_lshlrev_b64 v[8:9], 3, v[28:29]
	s_waitcnt lgkmcnt(0)
	v_add_co_u32 v6, vcc_lo, v6, v8
	s_delay_alu instid0(VALU_DEP_2)
	v_add_co_ci_u32_e32 v7, vcc_lo, v7, v9, vcc_lo
	v_and_b32_e32 v8, 0xffff, v16
	v_or_b32_e32 v16, 0x100, v30
	flat_load_b64 v[6:7], v[6:7]
	s_waitcnt vmcnt(0) lgkmcnt(0)
	v_mad_u64_u32 v[18:19], null, 0xa8, v8, v[6:7]
	flat_load_b128 v[6:9], v[18:19] offset:96
	s_waitcnt vmcnt(0) lgkmcnt(0)
	v_cmp_eq_u64_e32 vcc_lo, 0, v[6:7]
	v_cndmask_b32_e32 v30, v16, v30, vcc_lo
	s_delay_alu instid0(VALU_DEP_1) | instskip(NEXT) | instid1(VALU_DEP_1)
	v_and_b32_e32 v16, 16, v30
	v_cmpx_ne_u32_e32 0, v16
; %bb.38:
	s_clause 0x2
	flat_load_b64 v[32:33], v[18:19] offset:120
	flat_load_b64 v[20:21], v[18:19] offset:48
	;; [unrolled: 1-line block ×3, first 2 shown]
; %bb.39:
	s_or_b32 exec_lo, exec_lo, s2
	v_and_b32_e32 v16, 8, v30
	s_mov_b32 s2, exec_lo
	s_delay_alu instid0(VALU_DEP_1)
	v_cmpx_ne_u32_e32 0, v16
	s_cbranch_execz .LBB2_44
; %bb.40:
	v_and_b32_e32 v16, 0x800, v30
	s_mov_b32 s3, exec_lo
	s_delay_alu instid0(VALU_DEP_1)
	v_cmpx_eq_u32_e32 0, v16
	s_cbranch_execz .LBB2_43
; %bb.41:
	s_cbranch_execnz .LBB2_1203
; %bb.42:
	ds_store_b64 v0, v[18:19]
.LBB2_43:
	s_or_b32 exec_lo, exec_lo, s3
	s_waitcnt vmcnt(1) lgkmcnt(1)
	flat_load_b64 v[20:21], v[18:19] offset:56
	s_waitcnt vmcnt(0) lgkmcnt(0)
	flat_load_b64 v[24:25], v[20:21] glc
	s_clause 0x1
	flat_load_b32 v16, v[18:19] offset:72
	flat_load_b64 v[22:23], v[18:19] offset:16
	s_waitcnt vmcnt(1) lgkmcnt(1)
	v_ashrrev_i32_e32 v65, 1, v16
.LBB2_44:
	s_or_b32 exec_lo, exec_lo, s2
.LBB2_45:
	s_delay_alu instid0(SALU_CYCLE_1) | instskip(SKIP_1) | instid1(VALU_DEP_1)
	s_or_b32 exec_lo, exec_lo, s0
	v_cmp_eq_u32_e64 s0, 0, v0
	s_and_saveexec_b32 s2, s0
	s_cbranch_execz .LBB2_48
; %bb.46:
	s_waitcnt vmcnt(2)
	ds_store_2addr_b64 v0, v[12:13], v[10:11] offset1:1
	s_cbranch_execnz .LBB2_1180
; %bb.47:
	v_mov_b32_e32 v10, 0
	s_delay_alu instid0(VALU_DEP_1)
	v_mov_b32_e32 v11, v10
	ds_store_b64 v0, v[10:11]
	s_waitcnt vmcnt(1)
	ds_store_b64 v0, v[26:27]
.LBB2_48:
	s_or_b32 exec_lo, exec_lo, s2
	s_ashr_i32 s2, s1, 31
	s_waitcnt lgkmcnt(0)
	v_dual_mov_b32 v29, 0 :: v_dual_and_b32 v28, 0x1fffff00, v17
	s_lshr_b32 s2, s2, 29
	s_waitcnt vmcnt(2)
	v_bfe_u32 v10, v15, 1, 30
	s_waitcnt vmcnt(0)
	v_and_b32_e32 v64, 0xffff, v38
	s_add_i32 s1, s1, s2
                                        ; implicit-def: $vgpr26_vgpr27
	s_delay_alu instid0(SALU_CYCLE_1)
	s_ashr_i32 s16, s1, 4
	s_mov_b32 s1, exec_lo
	v_cmpx_ne_u32_e64 v36, v10
	s_xor_b32 s17, exec_lo, s1
	s_cbranch_execz .LBB2_954
; %bb.49:
	v_cmp_ne_u64_e64 s1, 0, v[4:5]
                                        ; implicit-def: $vgpr26_vgpr27
	s_mov_b32 s2, exec_lo
	v_cmpx_ne_u32_e64 v14, v10
	s_xor_b32 s18, exec_lo, s2
	s_cbranch_execz .LBB2_507
; %bb.50:
	v_mov_b32_e32 v26, 0
	v_mov_b32_e32 v27, 0
	s_and_saveexec_b32 s19, s1
	s_cbranch_execz .LBB2_506
; %bb.51:
	v_cmp_ge_i32_e64 s2, v0, v1
	s_cbranch_execnz .LBB2_1201
; %bb.52:
	v_ashrrev_i32_e32 v10, 31, v0
	v_lshrrev_b32_e32 v66, 5, v1
	v_dual_mov_b32 v36, 0 :: v_dual_and_b32 v11, 31, v31
	s_lshr_b32 s5, s16, 27
	s_delay_alu instid0(VALU_DEP_3) | instskip(NEXT) | instid1(VALU_DEP_3)
	v_lshrrev_b32_e32 v10, 27, v10
	v_dual_mov_b32 v87, 1 :: v_dual_lshlrev_b32 v68, 9, v66
	v_lshlrev_b32_e32 v67, 4, v0
	s_add_i32 s11, s16, s5
	s_delay_alu instid0(VALU_DEP_3)
	v_add_nc_u32_e32 v10, v0, v10
	v_cmp_eq_u32_e64 s5, 0, v11
	v_lshlrev_b32_e32 v71, 6, v66
	v_cmp_eq_u32_e32 vcc_lo, 32, v1
	v_lshlrev_b64 v[48:49], 1, v[34:35]
	v_and_b32_e32 v12, 0xffffffe0, v10
	v_ashrrev_i32_e32 v39, 31, v65
	v_cmp_ne_u32_e64 s3, 32, v1
	v_cmp_ne_u32_e64 s4, v64, v1
	s_ashr_i32 s21, s11, 5
	v_sub_nc_u32_e32 v70, v0, v12
	v_lshl_add_u32 v12, v66, 8, 0xffffff00
	s_mov_b32 s20, 0
	s_xor_b32 s22, vcc_lo, -1
	s_delay_alu instid0(VALU_DEP_2) | instskip(SKIP_3) | instid1(VALU_DEP_2)
	v_cmp_le_i32_e64 s6, v70, v37
	v_cmp_lt_i32_e64 s7, v70, v37
	v_mov_b32_e32 v37, 0
	v_dual_mov_b32 v38, 0 :: v_dual_add_nc_u32 v11, 0xfffffe00, v68
	v_mov_b32_e32 v26, v37
	v_ashrrev_i32_e32 v10, 5, v10
	v_ashrrev_i32_e32 v69, 31, v67
	s_delay_alu instid0(VALU_DEP_4)
	v_mov_b32_e32 v27, v38
	v_ashrrev_i32_e32 v13, 31, v11
	v_add_co_u32 v81, s10, 0x200, v11
	v_sub_nc_u32_e32 v80, 0, v10
	v_ashrrev_i32_e32 v10, 31, v12
	v_subrev_nc_u32_e32 v11, 64, v71
	v_add_co_ci_u32_e64 v82, s10, 0, v13, s10
	v_add_co_u32 v83, s10, 0x100, v12
	s_delay_alu instid0(VALU_DEP_1) | instskip(NEXT) | instid1(VALU_DEP_4)
	v_add_co_ci_u32_e64 v84, s10, 0, v10, s10
	v_ashrrev_i32_e32 v10, 31, v11
	v_add_co_u32 v85, s10, v11, 64
	s_delay_alu instid0(VALU_DEP_1)
	v_add_co_ci_u32_e64 v86, s10, 0, v10, s10
	v_cmp_eq_u64_e64 s10, 0, v[32:33]
.LBB2_53:                               ; =>This Loop Header: Depth=1
                                        ;     Child Loop BB2_63 Depth 2
                                        ;     Child Loop BB2_93 Depth 2
                                        ;     Child Loop BB2_116 Depth 2
                                        ;     Child Loop BB2_144 Depth 2
                                        ;     Child Loop BB2_246 Depth 2
                                        ;     Child Loop BB2_350 Depth 2
                                        ;     Child Loop BB2_404 Depth 2
                                        ;     Child Loop BB2_424 Depth 2
                                        ;     Child Loop BB2_451 Depth 2
                                        ;     Child Loop BB2_483 Depth 2
	v_sub_co_u32 v10, vcc_lo, v4, v37
	v_sub_co_ci_u32_e32 v11, vcc_lo, v5, v38, vcc_lo
	v_mov_b32_e32 v12, 0
	s_delay_alu instid0(VALU_DEP_2) | instskip(SKIP_2) | instid1(VALU_DEP_2)
	v_cmp_lt_u64_e32 vcc_lo, v[28:29], v[10:11]
	v_cndmask_b32_e32 v34, v10, v28, vcc_lo
	v_cndmask_b32_e64 v35, v11, 0, vcc_lo
	v_add_nc_u32_e32 v10, 15, v34
	s_delay_alu instid0(VALU_DEP_2) | instskip(NEXT) | instid1(VALU_DEP_2)
	v_cmp_eq_u64_e32 vcc_lo, 0, v[34:35]
	v_and_b32_e32 v10, 0x3ffffff0, v10
	s_or_b32 s23, s2, vcc_lo
	s_delay_alu instid0(SALU_CYCLE_1) | instskip(NEXT) | instid1(VALU_DEP_1)
	s_xor_b32 s11, s23, -1
	v_max_i32_e32 v96, s21, v10
	s_and_saveexec_b32 s24, s11
	s_cbranch_execz .LBB2_444
; %bb.54:                               ;   in Loop: Header=BB2_53 Depth=1
	s_and_saveexec_b32 s11, s0
	s_cbranch_execz .LBB2_57
; %bb.55:                               ;   in Loop: Header=BB2_53 Depth=1
	s_cbranch_execnz .LBB2_1229
; %bb.56:                               ;   in Loop: Header=BB2_53 Depth=1
	ds_load_b64 v[10:11], v0
	v_lshlrev_b64 v[12:13], 1, v[37:38]
	v_mov_b32_e32 v35, v36
	s_waitcnt lgkmcnt(0)
	v_add_co_u32 v10, vcc_lo, v10, v48
	v_add_co_ci_u32_e32 v11, vcc_lo, v11, v49, vcc_lo
	s_delay_alu instid0(VALU_DEP_2) | instskip(NEXT) | instid1(VALU_DEP_2)
	v_add_co_u32 v10, vcc_lo, v10, v12
	v_add_co_ci_u32_e32 v11, vcc_lo, v11, v13, vcc_lo
	ds_store_b64 v0, v[10:11]
	ds_store_b64 v0, v[35:36]
.LBB2_57:                               ;   in Loop: Header=BB2_53 Depth=1
	s_or_b32 exec_lo, exec_lo, s11
	v_and_b32_e32 v10, 12, v30
	s_mov_b32 s12, -1
	s_mov_b32 s11, exec_lo
	s_delay_alu instid0(VALU_DEP_1)
	v_cmpx_ne_u32_e32 0, v10
	s_cbranch_execz .LBB2_71
; %bb.58:                               ;   in Loop: Header=BB2_53 Depth=1
	v_and_b32_e32 v12, 8, v30
	s_delay_alu instid0(VALU_DEP_1) | instskip(SKIP_3) | instid1(VALU_DEP_1)
	v_add_co_u32 v13, vcc_lo, v24, v12
	v_add_co_ci_u32_e32 v14, vcc_lo, 0, v25, vcc_lo
	v_add_co_u32 v10, vcc_lo, v8, 1
	v_add_co_ci_u32_e32 v11, vcc_lo, 0, v9, vcc_lo
	v_cmp_lt_u64_e32 vcc_lo, v[13:14], v[10:11]
	v_mov_b32_e32 v13, 1
	s_and_saveexec_b32 s12, vcc_lo
	s_cbranch_execz .LBB2_70
; %bb.59:                               ;   in Loop: Header=BB2_53 Depth=1
	v_mov_b32_e32 v13, 0
	s_mov_b32 s13, 0
                                        ; implicit-def: $sgpr14
	s_branch .LBB2_63
.LBB2_60:                               ;   in Loop: Header=BB2_63 Depth=2
	s_or_b32 exec_lo, exec_lo, s28
	v_mov_b32_e32 v14, 0
	s_or_not1_b32 s27, s27, exec_lo
.LBB2_61:                               ;   in Loop: Header=BB2_63 Depth=2
	s_or_b32 exec_lo, exec_lo, s26
	s_delay_alu instid0(VALU_DEP_1) | instskip(SKIP_2) | instid1(SALU_CYCLE_1)
	v_mov_b32_e32 v13, v14
	s_and_not1_b32 s14, s14, exec_lo
	s_and_b32 s26, s27, exec_lo
	s_or_b32 s14, s14, s26
.LBB2_62:                               ;   in Loop: Header=BB2_63 Depth=2
	s_or_b32 exec_lo, exec_lo, s25
	s_waitcnt vmcnt(0) lgkmcnt(0)
	v_add_co_u32 v14, vcc_lo, v24, v12
	v_add_co_ci_u32_e32 v15, vcc_lo, 0, v25, vcc_lo
	s_xor_b32 s25, s14, -1
	s_delay_alu instid0(VALU_DEP_1) | instskip(SKIP_1) | instid1(SALU_CYCLE_1)
	v_cmp_ge_u64_e32 vcc_lo, v[14:15], v[10:11]
	s_or_b32 s25, s25, vcc_lo
	s_and_b32 s25, exec_lo, s25
	s_delay_alu instid0(SALU_CYCLE_1) | instskip(NEXT) | instid1(SALU_CYCLE_1)
	s_or_b32 s13, s25, s13
	s_and_not1_b32 exec_lo, exec_lo, s13
	s_cbranch_execz .LBB2_69
.LBB2_63:                               ;   Parent Loop BB2_53 Depth=1
                                        ; =>  This Inner Loop Header: Depth=2
	s_sleep 1
	flat_load_b64 v[24:25], v[20:21] glc
	v_and_b32_e32 v14, 64, v30
	s_and_not1_b32 s14, s14, exec_lo
	s_mov_b32 s25, exec_lo
	s_delay_alu instid0(VALU_DEP_1)
	v_cmpx_eq_u32_e32 0, v14
	s_cbranch_execz .LBB2_62
; %bb.64:                               ;   in Loop: Header=BB2_63 Depth=2
	v_add_nc_u32_e32 v14, 1, v13
	s_mov_b32 s27, -1
	s_mov_b32 s26, exec_lo
	v_cmpx_lt_i32_e32 0x270e, v13
	s_cbranch_execz .LBB2_61
; %bb.65:                               ;   in Loop: Header=BB2_63 Depth=2
	s_cbranch_execnz .LBB2_1251
; %bb.66:                               ;   in Loop: Header=BB2_63 Depth=2
	ds_load_b64 v[13:14], v0
	s_mov_b32 s28, exec_lo
	s_waitcnt vmcnt(0) lgkmcnt(0)
	s_waitcnt_vscnt null, 0x0
	flat_load_b32 v13, v[13:14] glc
	s_waitcnt vmcnt(0) lgkmcnt(0)
	buffer_gl1_inv
	buffer_gl0_inv
	v_cmpx_ne_u32_e32 0, v13
	s_cbranch_execz .LBB2_60
; %bb.67:                               ;   in Loop: Header=BB2_63 Depth=2
	ds_store_b32 v0, v13
	s_cbranch_execnz .LBB2_1284
; %bb.68:                               ;   in Loop: Header=BB2_63 Depth=2
	v_or_b32_e32 v30, 64, v30
	s_xor_b32 s27, exec_lo, -1
	s_branch .LBB2_60
.LBB2_69:                               ;   in Loop: Header=BB2_53 Depth=1
	s_or_b32 exec_lo, exec_lo, s13
	v_and_b32_e32 v13, 12, v30
.LBB2_70:                               ;   in Loop: Header=BB2_53 Depth=1
	s_or_b32 exec_lo, exec_lo, s12
	s_delay_alu instid0(VALU_DEP_1)
	v_cmp_eq_u32_e32 vcc_lo, 0, v13
	;;#ASMSTART
	s_wakeup
	;;#ASMEND
	s_or_not1_b32 s12, vcc_lo, exec_lo
.LBB2_71:                               ;   in Loop: Header=BB2_53 Depth=1
	s_or_b32 exec_lo, exec_lo, s11
	v_min_u32_e32 v96, v96, v34
	s_xor_b32 s11, s12, -1
	s_delay_alu instid0(SALU_CYCLE_1)
	s_and_saveexec_b32 s12, s11
	s_cbranch_execz .LBB2_84
; %bb.72:                               ;   in Loop: Header=BB2_53 Depth=1
	v_and_b32_e32 v10, 0x108, v30
	v_and_b32_e32 v14, 7, v8
	s_mov_b32 s11, exec_lo
	s_delay_alu instid0(VALU_DEP_2) | instskip(SKIP_1) | instid1(SALU_CYCLE_1)
	v_cmpx_ne_u32_e32 0x108, v10
	s_xor_b32 s11, exec_lo, s11
	s_and_not1_saveexec_b32 s11, s11
	s_cbranch_execz .LBB2_74
; %bb.73:                               ;   in Loop: Header=BB2_53 Depth=1
	v_mad_u64_u32 v[10:11], null, v14, 24, v[6:7]
	v_dual_mov_b32 v13, v36 :: v_dual_lshlrev_b32 v12, 1, v96
	flat_store_b64 v[10:11], v[12:13] offset:8
.LBB2_74:                               ;   in Loop: Header=BB2_53 Depth=1
	s_or_b32 exec_lo, exec_lo, s11
	v_and_b32_e32 v10, 0x100, v30
	s_mov_b32 s11, -1
	s_delay_alu instid0(VALU_DEP_1)
	v_cmp_ne_u32_e32 vcc_lo, 0, v10
                                        ; implicit-def: $vgpr10_vgpr11
	s_and_saveexec_b32 s13, vcc_lo
	s_cbranch_execnz .LBB2_77
; %bb.75:                               ;   in Loop: Header=BB2_53 Depth=1
	s_or_b32 exec_lo, exec_lo, s13
	s_and_saveexec_b32 s13, s11
	s_cbranch_execnz .LBB2_80
.LBB2_76:                               ;   in Loop: Header=BB2_53 Depth=1
	s_or_b32 exec_lo, exec_lo, s13
	s_cbranch_execnz .LBB2_1245
	s_branch .LBB2_81
.LBB2_77:                               ;   in Loop: Header=BB2_53 Depth=1
	v_mad_u64_u32 v[12:13], null, v14, 24, v[6:7]
	s_delay_alu instid0(VALU_DEP_1) | instskip(NEXT) | instid1(VALU_DEP_1)
	v_mov_b32_e32 v10, v13
	v_mad_u64_u32 v[15:16], null, v36, 24, v[10:11]
	s_delay_alu instid0(VALU_DEP_1) | instskip(SKIP_4) | instid1(VALU_DEP_1)
	v_mov_b32_e32 v13, v15
	flat_load_b32 v10, v[12:13]
	s_waitcnt vmcnt(0) lgkmcnt(0)
	v_cmp_ne_u32_e32 vcc_lo, 1, v10
	v_cmp_eq_u32_e64 s11, 1, v10
                                        ; implicit-def: $vgpr10_vgpr11
	s_and_saveexec_b32 s14, s11
	s_cbranch_execz .LBB2_79
; %bb.78:                               ;   in Loop: Header=BB2_53 Depth=1
	flat_load_b32 v10, v[12:13] offset:4 glc
	s_waitcnt vmcnt(0) lgkmcnt(0)
	v_ashrrev_i32_e32 v11, 31, v10
	s_delay_alu instid0(VALU_DEP_1)
	v_lshrrev_b64 v[10:11], 1, v[10:11]
.LBB2_79:                               ;   in Loop: Header=BB2_53 Depth=1
	s_or_b32 exec_lo, exec_lo, s14
	s_delay_alu instid0(SALU_CYCLE_1)
	s_or_not1_b32 s11, vcc_lo, exec_lo
	s_or_b32 exec_lo, exec_lo, s13
	s_and_saveexec_b32 s13, s11
	s_cbranch_execz .LBB2_76
.LBB2_80:                               ;   in Loop: Header=BB2_53 Depth=1
	v_mul_lo_u32 v12, v36, v65
	v_mul_lo_u32 v13, v14, v39
	v_mad_u64_u32 v[10:11], null, v14, v65, 0
	s_delay_alu instid0(VALU_DEP_1)
	v_add3_u32 v11, v11, v13, v12
	s_or_b32 exec_lo, exec_lo, s13
	s_cbranch_execnz .LBB2_1245
.LBB2_81:                               ;   in Loop: Header=BB2_53 Depth=1
	s_delay_alu instid0(VALU_DEP_1) | instskip(SKIP_2) | instid1(VALU_DEP_2)
	v_lshlrev_b64 v[10:11], 1, v[10:11]
	v_and_b32_e32 v12, 0x2000, v30
	s_mov_b32 s11, exec_lo
	v_add_co_u32 v10, vcc_lo, v22, v10
	s_delay_alu instid0(VALU_DEP_3)
	v_add_co_ci_u32_e32 v11, vcc_lo, v23, v11, vcc_lo
	ds_store_b64 v0, v[10:11]
	v_cmpx_ne_u32_e32 0, v12
	s_cbranch_execz .LBB2_83
; %bb.82:                               ;   in Loop: Header=BB2_53 Depth=1
	ds_load_b64 v[10:11], v0 offset:584
	s_waitcnt lgkmcnt(0)
	v_add_co_u32 v10, vcc_lo, v10, 1
	v_add_co_ci_u32_e32 v11, vcc_lo, 0, v11, vcc_lo
	ds_store_b64 v0, v[10:11] offset:584
.LBB2_83:                               ;   in Loop: Header=BB2_53 Depth=1
	s_or_b32 exec_lo, exec_lo, s11
	v_add_co_u32 v8, vcc_lo, v8, 1
	v_add_co_ci_u32_e32 v9, vcc_lo, 0, v9, vcc_lo
.LBB2_84:                               ;   in Loop: Header=BB2_53 Depth=1
	s_or_b32 exec_lo, exec_lo, s12
	s_and_saveexec_b32 s11, s3
	s_cbranch_execz .LBB2_106
; %bb.85:                               ;   in Loop: Header=BB2_53 Depth=1
	s_and_saveexec_b32 s12, s4
	s_delay_alu instid0(SALU_CYCLE_1)
	s_xor_b32 s12, exec_lo, s12
	s_cbranch_execz .LBB2_103
; %bb.86:                               ;   in Loop: Header=BB2_53 Depth=1
	s_and_saveexec_b32 s13, s5
	s_cbranch_execz .LBB2_102
; %bb.87:                               ;   in Loop: Header=BB2_53 Depth=1
	s_mov_b32 s25, exec_lo
	s_mov_b32 s14, exec_lo
	v_mbcnt_lo_u32_b32 v10, s25, 0
	s_waitcnt lgkmcnt(0)
	s_waitcnt_vscnt null, 0x0
	buffer_gl1_inv
	buffer_gl0_inv
	v_cmpx_eq_u32_e32 0, v10
	s_cbranch_execz .LBB2_89
; %bb.88:                               ;   in Loop: Header=BB2_53 Depth=1
	s_bcnt1_i32_b32 s25, s25
	s_delay_alu instid0(SALU_CYCLE_1)
	v_mov_b32_e32 v35, s25
	ds_add_u64 v0, v[35:36]
	s_cbranch_execnz .LBB2_1314
.LBB2_89:                               ;   in Loop: Header=BB2_53 Depth=1
	s_or_b32 exec_lo, exec_lo, s14
	s_cbranch_execnz .LBB2_1302
; %bb.90:                               ;   in Loop: Header=BB2_53 Depth=1
	ds_load_b64 v[10:11], v0
	v_add_co_u32 v26, vcc_lo, v26, v66
	v_add_co_ci_u32_e32 v27, vcc_lo, 0, v27, vcc_lo
	s_mov_b32 s14, exec_lo
	s_waitcnt lgkmcnt(0)
	s_delay_alu instid0(VALU_DEP_1)
	v_cmpx_lt_u64_e64 v[10:11], v[26:27]
	s_cbranch_execz .LBB2_101
; %bb.91:                               ;   in Loop: Header=BB2_53 Depth=1
	s_mov_b32 s25, 0
	s_mov_b32 s28, 0
                                        ; implicit-def: $sgpr26
                                        ; implicit-def: $sgpr27
	s_branch .LBB2_93
.LBB2_92:                               ;   in Loop: Header=BB2_93 Depth=2
	s_or_b32 exec_lo, exec_lo, vcc_hi
	s_delay_alu instid0(SALU_CYCLE_1) | instskip(NEXT) | instid1(SALU_CYCLE_1)
	s_and_b32 s29, exec_lo, vcc_lo
	s_or_b32 s25, s29, s25
	s_and_not1_b32 s26, s26, exec_lo
	s_and_b32 s29, s27, exec_lo
	s_delay_alu instid0(SALU_CYCLE_1)
	s_or_b32 s26, s26, s29
	s_and_not1_b32 exec_lo, exec_lo, s25
	s_cbranch_execz .LBB2_99
.LBB2_93:                               ;   Parent Loop BB2_53 Depth=1
                                        ; =>  This Inner Loop Header: Depth=2
	s_add_i32 s28, s28, 1
                                        ; implicit-def: $vcc_hi
	s_delay_alu instid0(SALU_CYCLE_1) | instskip(SKIP_1) | instid1(SALU_CYCLE_1)
	s_cmpk_lg_i32 s28, 0x2710
	s_cselect_b32 s29, -1, 0
	s_and_b32 vcc_lo, exec_lo, s29
	s_cbranch_vccz .LBB2_97
.LBB2_94:                               ;   in Loop: Header=BB2_93 Depth=2
	s_and_not1_b32 s27, s27, exec_lo
	s_and_b32 vcc_hi, vcc_hi, exec_lo
	s_mov_b32 vcc_lo, -1
	s_or_b32 s27, s27, vcc_hi
	s_and_saveexec_b32 vcc_hi, s29
	s_cbranch_execz .LBB2_92
; %bb.95:                               ;   in Loop: Header=BB2_93 Depth=2
	s_sleep 1
	s_cbranch_execnz .LBB2_1346
; %bb.96:                               ;   in Loop: Header=BB2_93 Depth=2
	ds_load_b64 v[10:11], v0
	s_and_not1_b32 s27, s27, exec_lo
	s_waitcnt lgkmcnt(0)
	v_cmp_ge_u64_e32 vcc_lo, v[10:11], v[26:27]
	s_or_not1_b32 vcc_lo, vcc_lo, exec_lo
	s_branch .LBB2_92
.LBB2_97:                               ;   in Loop: Header=BB2_93 Depth=2
	s_cbranch_execnz .LBB2_1354
; %bb.98:                               ;   in Loop: Header=BB2_93 Depth=2
	ds_load_b64 v[10:11], v0
	s_and_not1_b32 s29, s29, exec_lo
	s_mov_b32 s28, 0
	s_waitcnt lgkmcnt(0)
	flat_load_b32 v10, v[10:11] glc
	s_waitcnt vmcnt(0) lgkmcnt(0)
	buffer_gl1_inv
	buffer_gl0_inv
	v_cmp_eq_u32_e32 vcc_lo, 0, v10
	s_mov_b32 vcc_hi, -1
	s_and_b32 vcc_lo, vcc_lo, exec_lo
	s_delay_alu instid0(SALU_CYCLE_1)
	s_or_b32 s29, s29, vcc_lo
	s_branch .LBB2_94
.LBB2_99:                               ;   in Loop: Header=BB2_53 Depth=1
	s_or_b32 exec_lo, exec_lo, s25
	s_and_saveexec_b32 s25, s26
	s_delay_alu instid0(SALU_CYCLE_1)
	s_xor_b32 s25, exec_lo, s25
	s_cbranch_execz .LBB2_101
; %bb.100:                              ;   in Loop: Header=BB2_53 Depth=1
	ds_store_b32 v0, v87
	s_cbranch_execnz .LBB2_1432
.LBB2_101:                              ;   in Loop: Header=BB2_53 Depth=1
	s_or_b32 exec_lo, exec_lo, s14
	;;#ASMSTART
	s_wakeup
	;;#ASMEND
.LBB2_102:                              ;   in Loop: Header=BB2_53 Depth=1
	s_or_b32 exec_lo, exec_lo, s13
.LBB2_103:                              ;   in Loop: Header=BB2_53 Depth=1
	s_and_not1_saveexec_b32 s12, s12
	s_cbranch_execz .LBB2_105
; %bb.104:                              ;   in Loop: Header=BB2_53 Depth=1
	s_waitcnt lgkmcnt(0)
	s_waitcnt_vscnt null, 0x0
	buffer_gl1_inv
	buffer_gl0_inv
	s_barrier
.LBB2_105:                              ;   in Loop: Header=BB2_53 Depth=1
	s_or_b32 exec_lo, exec_lo, s12
.LBB2_106:                              ;   in Loop: Header=BB2_53 Depth=1
	s_delay_alu instid0(SALU_CYCLE_1)
	s_or_b32 exec_lo, exec_lo, s11
	s_cbranch_execnz .LBB2_1235
; %bb.107:                              ;   in Loop: Header=BB2_53 Depth=1
	ds_load_b32 v10, v0
	v_and_b32_e32 v11, 0x4000, v30
	s_delay_alu instid0(VALU_DEP_1) | instskip(SKIP_1) | instid1(SALU_CYCLE_1)
	v_cmp_ne_u32_e32 vcc_lo, 0, v11
	s_and_b32 s12, s22, vcc_lo
	s_and_saveexec_b32 s11, s12
	s_cbranch_execz .LBB2_129
; %bb.108:                              ;   in Loop: Header=BB2_53 Depth=1
	s_and_saveexec_b32 s12, s4
	s_delay_alu instid0(SALU_CYCLE_1)
	s_xor_b32 s12, exec_lo, s12
	s_cbranch_execz .LBB2_126
; %bb.109:                              ;   in Loop: Header=BB2_53 Depth=1
	s_and_saveexec_b32 s13, s5
	s_cbranch_execz .LBB2_125
; %bb.110:                              ;   in Loop: Header=BB2_53 Depth=1
	s_mov_b32 s25, exec_lo
	s_mov_b32 s14, exec_lo
	v_mbcnt_lo_u32_b32 v11, s25, 0
	s_waitcnt lgkmcnt(0)
	s_waitcnt_vscnt null, 0x0
	buffer_gl1_inv
	buffer_gl0_inv
	v_cmpx_eq_u32_e32 0, v11
	s_cbranch_execz .LBB2_112
; %bb.111:                              ;   in Loop: Header=BB2_53 Depth=1
	s_bcnt1_i32_b32 s25, s25
	s_delay_alu instid0(SALU_CYCLE_1)
	v_mov_b32_e32 v35, s25
	ds_add_u64 v0, v[35:36]
	s_cbranch_execnz .LBB2_1342
.LBB2_112:                              ;   in Loop: Header=BB2_53 Depth=1
	s_or_b32 exec_lo, exec_lo, s14
	s_cbranch_execnz .LBB2_1330
; %bb.113:                              ;   in Loop: Header=BB2_53 Depth=1
	ds_load_b64 v[11:12], v0
	v_add_co_u32 v26, vcc_lo, v26, v66
	v_add_co_ci_u32_e32 v27, vcc_lo, 0, v27, vcc_lo
	s_mov_b32 s14, exec_lo
	s_waitcnt lgkmcnt(0)
	s_delay_alu instid0(VALU_DEP_1)
	v_cmpx_lt_u64_e64 v[11:12], v[26:27]
	s_cbranch_execz .LBB2_124
; %bb.114:                              ;   in Loop: Header=BB2_53 Depth=1
	s_mov_b32 s25, 0
	s_mov_b32 s28, 0
                                        ; implicit-def: $sgpr26
                                        ; implicit-def: $sgpr27
	s_branch .LBB2_116
.LBB2_115:                              ;   in Loop: Header=BB2_116 Depth=2
	s_or_b32 exec_lo, exec_lo, vcc_hi
	s_delay_alu instid0(SALU_CYCLE_1) | instskip(NEXT) | instid1(SALU_CYCLE_1)
	s_and_b32 s29, exec_lo, vcc_lo
	s_or_b32 s25, s29, s25
	s_and_not1_b32 s26, s26, exec_lo
	s_and_b32 s29, s27, exec_lo
	s_delay_alu instid0(SALU_CYCLE_1)
	s_or_b32 s26, s26, s29
	s_and_not1_b32 exec_lo, exec_lo, s25
	s_cbranch_execz .LBB2_122
.LBB2_116:                              ;   Parent Loop BB2_53 Depth=1
                                        ; =>  This Inner Loop Header: Depth=2
	s_add_i32 s28, s28, 1
                                        ; implicit-def: $vcc_hi
	s_delay_alu instid0(SALU_CYCLE_1) | instskip(SKIP_1) | instid1(SALU_CYCLE_1)
	s_cmpk_lg_i32 s28, 0x2710
	s_cselect_b32 s29, -1, 0
	s_and_b32 vcc_lo, exec_lo, s29
	s_cbranch_vccz .LBB2_120
.LBB2_117:                              ;   in Loop: Header=BB2_116 Depth=2
	s_and_not1_b32 s27, s27, exec_lo
	s_and_b32 vcc_hi, vcc_hi, exec_lo
	s_mov_b32 vcc_lo, -1
	s_or_b32 s27, s27, vcc_hi
	s_and_saveexec_b32 vcc_hi, s29
	s_cbranch_execz .LBB2_115
; %bb.118:                              ;   in Loop: Header=BB2_116 Depth=2
	s_sleep 1
	s_cbranch_execnz .LBB2_1388
; %bb.119:                              ;   in Loop: Header=BB2_116 Depth=2
	ds_load_b64 v[11:12], v0
	s_and_not1_b32 s27, s27, exec_lo
	s_waitcnt lgkmcnt(0)
	v_cmp_ge_u64_e32 vcc_lo, v[11:12], v[26:27]
	s_or_not1_b32 vcc_lo, vcc_lo, exec_lo
	s_branch .LBB2_115
.LBB2_120:                              ;   in Loop: Header=BB2_116 Depth=2
	s_cbranch_execnz .LBB2_1402
; %bb.121:                              ;   in Loop: Header=BB2_116 Depth=2
	ds_load_b64 v[11:12], v0
	s_and_not1_b32 s29, s29, exec_lo
	s_mov_b32 s28, 0
	s_waitcnt lgkmcnt(0)
	flat_load_b32 v11, v[11:12] glc
	s_waitcnt vmcnt(0) lgkmcnt(0)
	buffer_gl1_inv
	buffer_gl0_inv
	v_cmp_eq_u32_e32 vcc_lo, 0, v11
	s_mov_b32 vcc_hi, -1
	s_and_b32 vcc_lo, vcc_lo, exec_lo
	s_delay_alu instid0(SALU_CYCLE_1)
	s_or_b32 s29, s29, vcc_lo
	s_branch .LBB2_117
.LBB2_122:                              ;   in Loop: Header=BB2_53 Depth=1
	s_or_b32 exec_lo, exec_lo, s25
	s_and_saveexec_b32 s25, s26
	s_delay_alu instid0(SALU_CYCLE_1)
	s_xor_b32 s25, exec_lo, s25
	s_cbranch_execz .LBB2_124
; %bb.123:                              ;   in Loop: Header=BB2_53 Depth=1
	ds_store_b32 v0, v87
	s_cbranch_execnz .LBB2_1442
.LBB2_124:                              ;   in Loop: Header=BB2_53 Depth=1
	s_or_b32 exec_lo, exec_lo, s14
	;;#ASMSTART
	s_wakeup
	;;#ASMEND
.LBB2_125:                              ;   in Loop: Header=BB2_53 Depth=1
	s_or_b32 exec_lo, exec_lo, s13
.LBB2_126:                              ;   in Loop: Header=BB2_53 Depth=1
	s_and_not1_saveexec_b32 s12, s12
	s_cbranch_execz .LBB2_128
; %bb.127:                              ;   in Loop: Header=BB2_53 Depth=1
	s_waitcnt lgkmcnt(0)
	s_waitcnt_vscnt null, 0x0
	buffer_gl1_inv
	buffer_gl0_inv
	s_barrier
.LBB2_128:                              ;   in Loop: Header=BB2_53 Depth=1
	s_or_b32 exec_lo, exec_lo, s12
.LBB2_129:                              ;   in Loop: Header=BB2_53 Depth=1
	s_delay_alu instid0(SALU_CYCLE_1)
	s_or_b32 exec_lo, exec_lo, s11
	s_cbranch_execnz .LBB2_1270
; %bb.130:                              ;   in Loop: Header=BB2_53 Depth=1
	ds_load_b64 v[11:12], v0
	s_waitcnt lgkmcnt(0)
	v_cmp_eq_u64_e32 vcc_lo, 0, v[11:12]
	s_or_b32 s11, vcc_lo, vcc_lo
	s_delay_alu instid0(SALU_CYCLE_1)
	s_and_b32 vcc_lo, exec_lo, s11
	s_mov_b32 s11, 0
	s_cbranch_vccnz .LBB2_415
; %bb.131:                              ;   in Loop: Header=BB2_53 Depth=1
	s_cbranch_execnz .LBB2_1296
; %bb.132:                              ;   in Loop: Header=BB2_53 Depth=1
	ds_load_b64 v[11:12], v0
	s_mov_b32 s11, -1
	s_waitcnt lgkmcnt(0)
	v_readfirstlane_b32 s25, v11
	s_and_saveexec_b32 s12, s6
	s_cbranch_execz .LBB2_134
; %bb.133:                              ;   in Loop: Header=BB2_53 Depth=1
	ds_load_b32 v11, v0 offset:720
	s_waitcnt lgkmcnt(0)
	v_and_b32_e32 v11, 15, v11
	s_delay_alu instid0(VALU_DEP_1)
	v_cmp_eq_u32_e32 vcc_lo, 0, v11
	s_or_not1_b32 s11, vcc_lo, exec_lo
.LBB2_134:                              ;   in Loop: Header=BB2_53 Depth=1
	s_or_b32 exec_lo, exec_lo, s12
	s_and_saveexec_b32 s12, s7
	s_cbranch_execz .LBB2_136
; %bb.135:                              ;   in Loop: Header=BB2_53 Depth=1
	ds_load_b32 v11, v0 offset:784
	s_waitcnt lgkmcnt(0)
	v_and_b32_e32 v11, 15, v11
	s_delay_alu instid0(VALU_DEP_1) | instskip(SKIP_3) | instid1(SALU_CYCLE_1)
	v_cmp_eq_u32_e32 vcc_lo, 0, v11
	s_and_b32 s13, s11, vcc_lo
	s_and_not1_b32 s11, s11, exec_lo
	s_and_b32 s13, s13, exec_lo
	s_or_b32 s11, s11, s13
.LBB2_136:                              ;   in Loop: Header=BB2_53 Depth=1
	s_or_b32 exec_lo, exec_lo, s12
	v_cmp_eq_u32_e32 vcc_lo, 0, v10
	s_xor_b32 s11, s11, -1
	s_mov_b32 s12, -1
	v_cndmask_b32_e64 v11, 0, 1, s11
	;;#ASMSTART
	;;#ASMEND
	v_dual_cndmask_b32 v35, 0, v96 :: v_dual_mov_b32 v16, 0
	s_delay_alu instid0(VALU_DEP_2) | instskip(NEXT) | instid1(VALU_DEP_2)
	v_cmp_ne_u32_e32 vcc_lo, 0, v11
	v_lshlrev_b32_e32 v97, 1, v35
	s_cbranch_vccz .LBB2_138
; %bb.137:                              ;   in Loop: Header=BB2_53 Depth=1
	v_mov_b32_e32 v17, v0
	s_branch .LBB2_343
.LBB2_138:                              ;   in Loop: Header=BB2_53 Depth=1
	v_lshrrev_b32_e32 v10, 8, v35
	s_delay_alu instid0(VALU_DEP_2) | instskip(SKIP_1) | instid1(VALU_DEP_2)
	v_sub_nc_u32_e32 v99, v97, v67
	s_mov_b32 s26, exec_lo
	v_lshlrev_b32_e32 v98, 9, v10
	s_delay_alu instid0(VALU_DEP_1) | instskip(NEXT) | instid1(VALU_DEP_1)
	v_sub_nc_u32_e32 v100, v97, v98
	v_cmp_lt_i32_e64 s11, 15, v100
	s_delay_alu instid0(VALU_DEP_1)
	v_add_co_ci_u32_e64 v101, vcc_lo, v10, v80, s11
	v_cmpx_lt_i32_e32 15, v99
	s_cbranch_execz .LBB2_239
; %bb.139:                              ;   in Loop: Header=BB2_53 Depth=1
	s_cbranch_execnz .LBB2_1396
; %bb.140:                              ;   in Loop: Header=BB2_53 Depth=1
	ds_load_b128 v[10:13], v0
	ds_load_b64 v[14:15], v0
	s_bitcmp1_b32 s25, 0
	s_mov_b32 s27, 0
	s_cselect_b32 s28, -1, 0
	s_waitcnt lgkmcnt(1)
	v_add_co_u32 v50, vcc_lo, v10, v67
	v_add_co_ci_u32_e32 v51, vcc_lo, v11, v69, vcc_lo
	v_add_co_u32 v52, vcc_lo, v12, v67
	v_add_co_ci_u32_e32 v53, vcc_lo, v13, v69, vcc_lo
	s_waitcnt lgkmcnt(0)
	v_add_co_u32 v54, vcc_lo, v14, v67
	v_add_co_ci_u32_e32 v55, vcc_lo, v15, v69, vcc_lo
	s_branch .LBB2_144
.LBB2_141:                              ;   in Loop: Header=BB2_144 Depth=2
	s_or_b32 exec_lo, exec_lo, s29
	s_delay_alu instid0(VALU_DEP_1)
	v_mov_b32_e32 v113, v103
.LBB2_142:                              ;   in Loop: Header=BB2_144 Depth=2
	s_or_b32 exec_lo, exec_lo, s14
	s_delay_alu instid0(VALU_DEP_1)
	v_mov_b32_e32 v17, v113
.LBB2_143:                              ;   in Loop: Header=BB2_144 Depth=2
	v_lshlrev_b32_e32 v10, 16, v10
	v_and_b32_e32 v13, 0xffff, v102
	v_lshlrev_b32_e32 v16, 16, v16
	v_and_b32_e32 v15, 0xffff, v15
	v_lshlrev_b32_e32 v14, 16, v14
	v_and_b32_e32 v11, 0xffff, v11
	v_or_b32_e32 v10, v10, v13
	v_lshlrev_b32_e32 v13, 16, v17
	v_and_b32_e32 v12, 0xffff, v12
	v_or_b32_e32 v15, v16, v15
	v_add_co_u32 v50, vcc_lo, v50, v81
	v_or3_b32 v11, v14, v11, 0
	v_or3_b32 v10, 0, 0, v10
	;; [unrolled: 1-line block ×4, first 2 shown]
	v_sub_nc_u32_e32 v99, v99, v68
	v_add_co_ci_u32_e32 v51, vcc_lo, v51, v82, vcc_lo
	v_add_co_u32 v52, vcc_lo, v52, v81
	v_add_co_ci_u32_e32 v53, vcc_lo, v53, v82, vcc_lo
	global_store_b128 v[54:55], v[10:13], off glc slc dlc
	v_cmp_gt_i32_e32 vcc_lo, 16, v99
	v_add_co_u32 v54, s12, v54, v81
	s_delay_alu instid0(VALU_DEP_1) | instskip(SKIP_2) | instid1(SALU_CYCLE_1)
	v_add_co_ci_u32_e64 v55, s12, v55, v82, s12
	v_sub_nc_u32_e32 v101, v101, v66
	s_or_b32 s27, vcc_lo, s27
	s_and_not1_b32 exec_lo, exec_lo, s27
	s_cbranch_execz .LBB2_238
.LBB2_144:                              ;   Parent Loop BB2_53 Depth=1
                                        ; =>  This Inner Loop Header: Depth=2
	global_load_b128 v[14:17], v[50:51], off slc dlc
	global_load_b128 v[10:13], v[52:53], off slc dlc
	s_mov_b32 s14, -1
	s_and_b32 vcc_lo, exec_lo, s28
	s_waitcnt vmcnt(1)
	v_and_b32_e32 v102, 0x7fff, v14
	s_waitcnt vmcnt(0)
	v_and_b32_e32 v103, 0x7fff, v10
	v_perm_b32 v112, v10, v14, 0x5040100
	s_delay_alu instid0(VALU_DEP_3) | instskip(NEXT) | instid1(VALU_DEP_3)
	v_cmp_lt_u16_e64 s12, 0x7c00, v102
	v_cmp_gt_u16_e64 s13, 0x7c01, v103
                                        ; implicit-def: $vgpr102
	s_delay_alu instid0(VALU_DEP_1) | instskip(NEXT) | instid1(SALU_CYCLE_1)
	s_and_b32 s29, s12, s13
	s_xor_b32 s29, s29, -1
	s_cbranch_vccz .LBB2_150
; %bb.145:                              ;   in Loop: Header=BB2_144 Depth=2
	v_mov_b32_e32 v102, v10
	s_and_saveexec_b32 vcc_hi, s29
	s_cbranch_execz .LBB2_149
; %bb.146:                              ;   in Loop: Header=BB2_144 Depth=2
	v_mov_b32_e32 v102, v14
	s_or_b32 s14, s12, s13
	s_delay_alu instid0(SALU_CYCLE_1)
	s_and_saveexec_b32 s30, s14
; %bb.147:                              ;   in Loop: Header=BB2_144 Depth=2
	v_lshrrev_b32_e32 v102, 16, v112
	v_cmp_lt_u16_e32 vcc_lo, 0x7c00, v103
	s_delay_alu instid0(VALU_DEP_2) | instskip(NEXT) | instid1(VALU_DEP_1)
	v_cmp_gt_f16_e64 s14, v112, v102
	v_cndmask_b32_e64 v102, v102, v112, s14
	s_and_b32 s14, s12, vcc_lo
	s_delay_alu instid0(VALU_DEP_1) | instid1(SALU_CYCLE_1)
	v_cndmask_b32_e64 v102, v102, 0x7fff, s14
; %bb.148:                              ;   in Loop: Header=BB2_144 Depth=2
	s_or_b32 exec_lo, exec_lo, s30
.LBB2_149:                              ;   in Loop: Header=BB2_144 Depth=2
	s_delay_alu instid0(SALU_CYCLE_1)
	s_or_b32 exec_lo, exec_lo, vcc_hi
	s_mov_b32 s14, 0
.LBB2_150:                              ;   in Loop: Header=BB2_144 Depth=2
	s_delay_alu instid0(SALU_CYCLE_1)
	s_and_not1_b32 vcc_lo, exec_lo, s14
	s_cbranch_vccnz .LBB2_156
; %bb.151:                              ;   in Loop: Header=BB2_144 Depth=2
	v_mov_b32_e32 v102, v10
	s_and_saveexec_b32 s14, s29
	s_cbranch_execz .LBB2_155
; %bb.152:                              ;   in Loop: Header=BB2_144 Depth=2
	v_mov_b32_e32 v102, v14
	s_or_b32 s13, s12, s13
	s_delay_alu instid0(SALU_CYCLE_1)
	s_and_saveexec_b32 s29, s13
; %bb.153:                              ;   in Loop: Header=BB2_144 Depth=2
	v_lshrrev_b32_e32 v102, 16, v112
	v_cmp_lt_u16_e32 vcc_lo, 0x7c00, v103
	s_delay_alu instid0(VALU_DEP_2) | instskip(SKIP_1) | instid1(VALU_DEP_1)
	v_cmp_gt_f16_e64 s13, v112, v102
	s_and_b32 s12, s12, vcc_lo
	v_cndmask_b32_e64 v102, v112, v102, s13
	s_delay_alu instid0(VALU_DEP_1)
	v_cndmask_b32_e64 v102, v102, 0x7fff, s12
; %bb.154:                              ;   in Loop: Header=BB2_144 Depth=2
	s_or_b32 exec_lo, exec_lo, s29
.LBB2_155:                              ;   in Loop: Header=BB2_144 Depth=2
	s_delay_alu instid0(SALU_CYCLE_1)
	s_or_b32 exec_lo, exec_lo, s14
.LBB2_156:                              ;   in Loop: Header=BB2_144 Depth=2
	v_mov_b32_e32 v114, v14
	v_mov_b32_e32 v14, v15
	;; [unrolled: 1-line block ×3, first 2 shown]
	s_mov_b32 s14, -1
	s_and_b32 vcc_lo, exec_lo, s28
	v_lshrrev_b32_e32 v103, 16, v114
	s_delay_alu instid0(VALU_DEP_1) | instskip(NEXT) | instid1(VALU_DEP_1)
	v_dual_mov_b32 v115, v10 :: v_dual_and_b32 v10, 0x7fff, v103
	v_lshrrev_b32_e32 v113, 16, v115
	v_perm_b32 v11, v115, v114, 0x7060302
	s_delay_alu instid0(VALU_DEP_3) | instskip(NEXT) | instid1(VALU_DEP_3)
	v_cmp_lt_u16_e64 s12, 0x7c00, v10
	v_and_b32_e32 v112, 0x7fff, v113
                                        ; implicit-def: $vgpr10
	s_delay_alu instid0(VALU_DEP_1) | instskip(NEXT) | instid1(VALU_DEP_1)
	v_cmp_gt_u16_e64 s13, 0x7c01, v112
	s_and_b32 s29, s12, s13
	s_delay_alu instid0(SALU_CYCLE_1)
	s_xor_b32 s29, s29, -1
	s_cbranch_vccz .LBB2_162
; %bb.157:                              ;   in Loop: Header=BB2_144 Depth=2
	v_mov_b32_e32 v10, v113
	s_and_saveexec_b32 vcc_hi, s29
	s_cbranch_execz .LBB2_161
; %bb.158:                              ;   in Loop: Header=BB2_144 Depth=2
	v_mov_b32_e32 v10, v103
	s_or_b32 s14, s12, s13
	s_delay_alu instid0(SALU_CYCLE_1)
	s_and_saveexec_b32 s30, s14
; %bb.159:                              ;   in Loop: Header=BB2_144 Depth=2
	v_lshrrev_b32_e32 v10, 16, v11
	v_cmp_lt_u16_e32 vcc_lo, 0x7c00, v112
	s_delay_alu instid0(VALU_DEP_2) | instskip(NEXT) | instid1(VALU_DEP_1)
	v_cmp_gt_f16_e64 s14, v11, v10
	v_cndmask_b32_e64 v10, v10, v11, s14
	s_and_b32 s14, s12, vcc_lo
	s_delay_alu instid0(VALU_DEP_1) | instid1(SALU_CYCLE_1)
	v_cndmask_b32_e64 v10, v10, 0x7fff, s14
; %bb.160:                              ;   in Loop: Header=BB2_144 Depth=2
	s_or_b32 exec_lo, exec_lo, s30
.LBB2_161:                              ;   in Loop: Header=BB2_144 Depth=2
	s_delay_alu instid0(SALU_CYCLE_1)
	s_or_b32 exec_lo, exec_lo, vcc_hi
	s_mov_b32 s14, 0
.LBB2_162:                              ;   in Loop: Header=BB2_144 Depth=2
	s_delay_alu instid0(SALU_CYCLE_1)
	s_and_not1_b32 vcc_lo, exec_lo, s14
	s_cbranch_vccnz .LBB2_168
; %bb.163:                              ;   in Loop: Header=BB2_144 Depth=2
	s_and_saveexec_b32 s14, s29
	s_cbranch_execz .LBB2_167
; %bb.164:                              ;   in Loop: Header=BB2_144 Depth=2
	s_or_b32 s13, s12, s13
	s_delay_alu instid0(SALU_CYCLE_1)
	s_and_saveexec_b32 s29, s13
; %bb.165:                              ;   in Loop: Header=BB2_144 Depth=2
	v_lshrrev_b32_e32 v10, 16, v11
	v_cmp_lt_u16_e32 vcc_lo, 0x7c00, v112
	s_delay_alu instid0(VALU_DEP_2) | instskip(SKIP_1) | instid1(VALU_DEP_1)
	v_cmp_gt_f16_e64 s13, v11, v10
	s_and_b32 s12, s12, vcc_lo
	v_cndmask_b32_e64 v10, v11, v10, s13
	s_delay_alu instid0(VALU_DEP_1)
	v_cndmask_b32_e64 v103, v10, 0x7fff, s12
; %bb.166:                              ;   in Loop: Header=BB2_144 Depth=2
	s_or_b32 exec_lo, exec_lo, s29
	s_delay_alu instid0(VALU_DEP_1)
	v_mov_b32_e32 v113, v103
.LBB2_167:                              ;   in Loop: Header=BB2_144 Depth=2
	s_or_b32 exec_lo, exec_lo, s14
	s_delay_alu instid0(VALU_DEP_1)
	v_mov_b32_e32 v10, v113
.LBB2_168:                              ;   in Loop: Header=BB2_144 Depth=2
	v_and_b32_e32 v11, 0x7fff, v14
	v_and_b32_e32 v103, 0x7fff, v15
	v_perm_b32 v112, v15, v14, 0x5040100
	s_mov_b32 s14, -1
	s_and_b32 vcc_lo, exec_lo, s28
	v_cmp_lt_u16_e64 s12, 0x7c00, v11
	v_cmp_gt_u16_e64 s13, 0x7c01, v103
                                        ; implicit-def: $vgpr11
	s_delay_alu instid0(VALU_DEP_1) | instskip(NEXT) | instid1(SALU_CYCLE_1)
	s_and_b32 s29, s12, s13
	s_xor_b32 s29, s29, -1
	s_cbranch_vccz .LBB2_174
; %bb.169:                              ;   in Loop: Header=BB2_144 Depth=2
	v_mov_b32_e32 v11, v15
	s_and_saveexec_b32 vcc_hi, s29
	s_cbranch_execz .LBB2_173
; %bb.170:                              ;   in Loop: Header=BB2_144 Depth=2
	v_mov_b32_e32 v11, v14
	s_or_b32 s14, s12, s13
	s_delay_alu instid0(SALU_CYCLE_1)
	s_and_saveexec_b32 s30, s14
; %bb.171:                              ;   in Loop: Header=BB2_144 Depth=2
	v_lshrrev_b32_e32 v11, 16, v112
	v_cmp_lt_u16_e32 vcc_lo, 0x7c00, v103
	s_delay_alu instid0(VALU_DEP_2) | instskip(NEXT) | instid1(VALU_DEP_1)
	v_cmp_gt_f16_e64 s14, v112, v11
	v_cndmask_b32_e64 v11, v11, v112, s14
	s_and_b32 s14, s12, vcc_lo
	s_delay_alu instid0(VALU_DEP_1) | instid1(SALU_CYCLE_1)
	v_cndmask_b32_e64 v11, v11, 0x7fff, s14
; %bb.172:                              ;   in Loop: Header=BB2_144 Depth=2
	s_or_b32 exec_lo, exec_lo, s30
.LBB2_173:                              ;   in Loop: Header=BB2_144 Depth=2
	s_delay_alu instid0(SALU_CYCLE_1)
	s_or_b32 exec_lo, exec_lo, vcc_hi
	s_mov_b32 s14, 0
.LBB2_174:                              ;   in Loop: Header=BB2_144 Depth=2
	s_delay_alu instid0(SALU_CYCLE_1)
	s_and_not1_b32 vcc_lo, exec_lo, s14
	s_cbranch_vccnz .LBB2_180
; %bb.175:                              ;   in Loop: Header=BB2_144 Depth=2
	v_mov_b32_e32 v11, v15
	s_and_saveexec_b32 s14, s29
	s_cbranch_execz .LBB2_179
; %bb.176:                              ;   in Loop: Header=BB2_144 Depth=2
	v_mov_b32_e32 v11, v14
	s_or_b32 s13, s12, s13
	s_delay_alu instid0(SALU_CYCLE_1)
	s_and_saveexec_b32 s29, s13
; %bb.177:                              ;   in Loop: Header=BB2_144 Depth=2
	v_lshrrev_b32_e32 v11, 16, v112
	v_cmp_lt_u16_e32 vcc_lo, 0x7c00, v103
	s_delay_alu instid0(VALU_DEP_2) | instskip(SKIP_1) | instid1(VALU_DEP_1)
	v_cmp_gt_f16_e64 s13, v112, v11
	s_and_b32 s12, s12, vcc_lo
	v_cndmask_b32_e64 v11, v112, v11, s13
	s_delay_alu instid0(VALU_DEP_1)
	v_cndmask_b32_e64 v11, v11, 0x7fff, s12
; %bb.178:                              ;   in Loop: Header=BB2_144 Depth=2
	s_or_b32 exec_lo, exec_lo, s29
.LBB2_179:                              ;   in Loop: Header=BB2_144 Depth=2
	s_delay_alu instid0(SALU_CYCLE_1)
	s_or_b32 exec_lo, exec_lo, s14
.LBB2_180:                              ;   in Loop: Header=BB2_144 Depth=2
	v_lshrrev_b32_e32 v103, 16, v14
	v_lshrrev_b32_e32 v113, 16, v15
	v_perm_b32 v15, v15, v14, 0x7060302
	s_mov_b32 s14, -1
	s_and_b32 vcc_lo, exec_lo, s28
	v_and_b32_e32 v114, 0x7fff, v103
	v_and_b32_e32 v112, 0x7fff, v113
                                        ; implicit-def: $vgpr14
	s_delay_alu instid0(VALU_DEP_2) | instskip(NEXT) | instid1(VALU_DEP_2)
	v_cmp_lt_u16_e64 s12, 0x7c00, v114
	v_cmp_gt_u16_e64 s13, 0x7c01, v112
	s_delay_alu instid0(VALU_DEP_1) | instskip(NEXT) | instid1(SALU_CYCLE_1)
	s_and_b32 s29, s12, s13
	s_xor_b32 s29, s29, -1
	s_cbranch_vccz .LBB2_186
; %bb.181:                              ;   in Loop: Header=BB2_144 Depth=2
	v_mov_b32_e32 v14, v113
	s_and_saveexec_b32 vcc_hi, s29
	s_cbranch_execz .LBB2_185
; %bb.182:                              ;   in Loop: Header=BB2_144 Depth=2
	v_mov_b32_e32 v14, v103
	s_or_b32 s14, s12, s13
	s_delay_alu instid0(SALU_CYCLE_1)
	s_and_saveexec_b32 s30, s14
; %bb.183:                              ;   in Loop: Header=BB2_144 Depth=2
	v_lshrrev_b32_e32 v14, 16, v15
	v_cmp_lt_u16_e32 vcc_lo, 0x7c00, v112
	s_delay_alu instid0(VALU_DEP_2) | instskip(NEXT) | instid1(VALU_DEP_1)
	v_cmp_gt_f16_e64 s14, v15, v14
	v_cndmask_b32_e64 v14, v14, v15, s14
	s_and_b32 s14, s12, vcc_lo
	s_delay_alu instid0(VALU_DEP_1) | instid1(SALU_CYCLE_1)
	v_cndmask_b32_e64 v14, v14, 0x7fff, s14
; %bb.184:                              ;   in Loop: Header=BB2_144 Depth=2
	s_or_b32 exec_lo, exec_lo, s30
.LBB2_185:                              ;   in Loop: Header=BB2_144 Depth=2
	s_delay_alu instid0(SALU_CYCLE_1)
	s_or_b32 exec_lo, exec_lo, vcc_hi
	s_mov_b32 s14, 0
.LBB2_186:                              ;   in Loop: Header=BB2_144 Depth=2
	s_delay_alu instid0(SALU_CYCLE_1)
	s_and_not1_b32 vcc_lo, exec_lo, s14
	s_cbranch_vccnz .LBB2_192
; %bb.187:                              ;   in Loop: Header=BB2_144 Depth=2
	s_and_saveexec_b32 s14, s29
	s_cbranch_execz .LBB2_191
; %bb.188:                              ;   in Loop: Header=BB2_144 Depth=2
	s_or_b32 s13, s12, s13
	s_delay_alu instid0(SALU_CYCLE_1)
	s_and_saveexec_b32 s29, s13
; %bb.189:                              ;   in Loop: Header=BB2_144 Depth=2
	v_lshrrev_b32_e32 v14, 16, v15
	v_cmp_lt_u16_e32 vcc_lo, 0x7c00, v112
	s_delay_alu instid0(VALU_DEP_2) | instskip(SKIP_1) | instid1(VALU_DEP_1)
	v_cmp_gt_f16_e64 s13, v15, v14
	s_and_b32 s12, s12, vcc_lo
	v_cndmask_b32_e64 v14, v15, v14, s13
	s_delay_alu instid0(VALU_DEP_1)
	v_cndmask_b32_e64 v103, v14, 0x7fff, s12
; %bb.190:                              ;   in Loop: Header=BB2_144 Depth=2
	s_or_b32 exec_lo, exec_lo, s29
	s_delay_alu instid0(VALU_DEP_1)
	v_mov_b32_e32 v113, v103
.LBB2_191:                              ;   in Loop: Header=BB2_144 Depth=2
	s_or_b32 exec_lo, exec_lo, s14
	s_delay_alu instid0(VALU_DEP_1)
	v_mov_b32_e32 v14, v113
.LBB2_192:                              ;   in Loop: Header=BB2_144 Depth=2
	v_and_b32_e32 v15, 0x7fff, v16
	v_and_b32_e32 v103, 0x7fff, v12
	v_perm_b32 v112, v12, v16, 0x5040100
	s_mov_b32 s14, -1
	s_and_b32 vcc_lo, exec_lo, s28
	v_cmp_lt_u16_e64 s12, 0x7c00, v15
	v_cmp_gt_u16_e64 s13, 0x7c01, v103
                                        ; implicit-def: $vgpr15
	s_delay_alu instid0(VALU_DEP_1) | instskip(NEXT) | instid1(SALU_CYCLE_1)
	s_and_b32 s29, s12, s13
	s_xor_b32 s29, s29, -1
	s_cbranch_vccz .LBB2_198
; %bb.193:                              ;   in Loop: Header=BB2_144 Depth=2
	v_mov_b32_e32 v15, v12
	s_and_saveexec_b32 vcc_hi, s29
	s_cbranch_execz .LBB2_197
; %bb.194:                              ;   in Loop: Header=BB2_144 Depth=2
	v_mov_b32_e32 v15, v16
	s_or_b32 s14, s12, s13
	s_delay_alu instid0(SALU_CYCLE_1)
	s_and_saveexec_b32 s30, s14
; %bb.195:                              ;   in Loop: Header=BB2_144 Depth=2
	v_lshrrev_b32_e32 v15, 16, v112
	v_cmp_lt_u16_e32 vcc_lo, 0x7c00, v103
	s_delay_alu instid0(VALU_DEP_2) | instskip(NEXT) | instid1(VALU_DEP_1)
	v_cmp_gt_f16_e64 s14, v112, v15
	v_cndmask_b32_e64 v15, v15, v112, s14
	s_and_b32 s14, s12, vcc_lo
	s_delay_alu instid0(VALU_DEP_1) | instid1(SALU_CYCLE_1)
	v_cndmask_b32_e64 v15, v15, 0x7fff, s14
; %bb.196:                              ;   in Loop: Header=BB2_144 Depth=2
	s_or_b32 exec_lo, exec_lo, s30
.LBB2_197:                              ;   in Loop: Header=BB2_144 Depth=2
	s_delay_alu instid0(SALU_CYCLE_1)
	s_or_b32 exec_lo, exec_lo, vcc_hi
	s_mov_b32 s14, 0
.LBB2_198:                              ;   in Loop: Header=BB2_144 Depth=2
	s_delay_alu instid0(SALU_CYCLE_1)
	s_and_not1_b32 vcc_lo, exec_lo, s14
	s_cbranch_vccnz .LBB2_204
; %bb.199:                              ;   in Loop: Header=BB2_144 Depth=2
	v_mov_b32_e32 v15, v12
	s_and_saveexec_b32 s14, s29
	s_cbranch_execz .LBB2_203
; %bb.200:                              ;   in Loop: Header=BB2_144 Depth=2
	v_mov_b32_e32 v15, v16
	s_or_b32 s13, s12, s13
	s_delay_alu instid0(SALU_CYCLE_1)
	s_and_saveexec_b32 s29, s13
; %bb.201:                              ;   in Loop: Header=BB2_144 Depth=2
	v_lshrrev_b32_e32 v15, 16, v112
	v_cmp_lt_u16_e32 vcc_lo, 0x7c00, v103
	s_delay_alu instid0(VALU_DEP_2) | instskip(SKIP_1) | instid1(VALU_DEP_1)
	v_cmp_gt_f16_e64 s13, v112, v15
	s_and_b32 s12, s12, vcc_lo
	v_cndmask_b32_e64 v15, v112, v15, s13
	s_delay_alu instid0(VALU_DEP_1)
	v_cndmask_b32_e64 v15, v15, 0x7fff, s12
; %bb.202:                              ;   in Loop: Header=BB2_144 Depth=2
	s_or_b32 exec_lo, exec_lo, s29
.LBB2_203:                              ;   in Loop: Header=BB2_144 Depth=2
	s_delay_alu instid0(SALU_CYCLE_1)
	s_or_b32 exec_lo, exec_lo, s14
.LBB2_204:                              ;   in Loop: Header=BB2_144 Depth=2
	v_mov_b32_e32 v114, v16
	v_lshrrev_b32_e32 v113, 16, v12
	s_mov_b32 s14, -1
	s_and_b32 vcc_lo, exec_lo, s28
	s_delay_alu instid0(VALU_DEP_2) | instskip(NEXT) | instid1(VALU_DEP_2)
	v_lshrrev_b32_e32 v103, 16, v114
	v_and_b32_e32 v112, 0x7fff, v113
	v_perm_b32 v12, v12, v114, 0x7060302
	s_delay_alu instid0(VALU_DEP_3) | instskip(NEXT) | instid1(VALU_DEP_3)
	v_and_b32_e32 v16, 0x7fff, v103
	v_cmp_gt_u16_e64 s13, 0x7c01, v112
	s_delay_alu instid0(VALU_DEP_2) | instskip(NEXT) | instid1(VALU_DEP_1)
	v_cmp_lt_u16_e64 s12, 0x7c00, v16
                                        ; implicit-def: $vgpr16
	s_and_b32 s29, s12, s13
	s_delay_alu instid0(SALU_CYCLE_1)
	s_xor_b32 s29, s29, -1
	s_cbranch_vccz .LBB2_210
; %bb.205:                              ;   in Loop: Header=BB2_144 Depth=2
	v_mov_b32_e32 v16, v113
	s_and_saveexec_b32 vcc_hi, s29
	s_cbranch_execz .LBB2_209
; %bb.206:                              ;   in Loop: Header=BB2_144 Depth=2
	v_mov_b32_e32 v16, v103
	s_or_b32 s14, s12, s13
	s_delay_alu instid0(SALU_CYCLE_1)
	s_and_saveexec_b32 s30, s14
; %bb.207:                              ;   in Loop: Header=BB2_144 Depth=2
	v_lshrrev_b32_e32 v16, 16, v12
	v_cmp_lt_u16_e32 vcc_lo, 0x7c00, v112
	s_delay_alu instid0(VALU_DEP_2) | instskip(NEXT) | instid1(VALU_DEP_1)
	v_cmp_gt_f16_e64 s14, v12, v16
	v_cndmask_b32_e64 v16, v16, v12, s14
	s_and_b32 s14, s12, vcc_lo
	s_delay_alu instid0(VALU_DEP_1) | instid1(SALU_CYCLE_1)
	v_cndmask_b32_e64 v16, v16, 0x7fff, s14
; %bb.208:                              ;   in Loop: Header=BB2_144 Depth=2
	s_or_b32 exec_lo, exec_lo, s30
.LBB2_209:                              ;   in Loop: Header=BB2_144 Depth=2
	s_delay_alu instid0(SALU_CYCLE_1)
	s_or_b32 exec_lo, exec_lo, vcc_hi
	s_mov_b32 s14, 0
.LBB2_210:                              ;   in Loop: Header=BB2_144 Depth=2
	s_delay_alu instid0(SALU_CYCLE_1)
	s_and_not1_b32 vcc_lo, exec_lo, s14
	s_cbranch_vccnz .LBB2_216
; %bb.211:                              ;   in Loop: Header=BB2_144 Depth=2
	s_and_saveexec_b32 s14, s29
	s_cbranch_execz .LBB2_215
; %bb.212:                              ;   in Loop: Header=BB2_144 Depth=2
	s_or_b32 s13, s12, s13
	s_delay_alu instid0(SALU_CYCLE_1)
	s_and_saveexec_b32 s29, s13
; %bb.213:                              ;   in Loop: Header=BB2_144 Depth=2
	v_lshrrev_b32_e32 v16, 16, v12
	v_cmp_lt_u16_e32 vcc_lo, 0x7c00, v112
	s_delay_alu instid0(VALU_DEP_2) | instskip(SKIP_1) | instid1(VALU_DEP_1)
	v_cmp_gt_f16_e64 s13, v12, v16
	s_and_b32 s12, s12, vcc_lo
	v_cndmask_b32_e64 v12, v12, v16, s13
	s_delay_alu instid0(VALU_DEP_1)
	v_cndmask_b32_e64 v103, v12, 0x7fff, s12
; %bb.214:                              ;   in Loop: Header=BB2_144 Depth=2
	s_or_b32 exec_lo, exec_lo, s29
	s_delay_alu instid0(VALU_DEP_1)
	v_mov_b32_e32 v113, v103
.LBB2_215:                              ;   in Loop: Header=BB2_144 Depth=2
	s_or_b32 exec_lo, exec_lo, s14
	s_delay_alu instid0(VALU_DEP_1)
	v_mov_b32_e32 v16, v113
.LBB2_216:                              ;   in Loop: Header=BB2_144 Depth=2
	v_and_b32_e32 v12, 0x7fff, v17
	v_and_b32_e32 v103, 0x7fff, v13
	v_perm_b32 v112, v13, v17, 0x5040100
	s_mov_b32 s14, -1
	s_and_b32 vcc_lo, exec_lo, s28
	v_cmp_lt_u16_e64 s12, 0x7c00, v12
	v_cmp_gt_u16_e64 s13, 0x7c01, v103
                                        ; implicit-def: $vgpr12
	s_delay_alu instid0(VALU_DEP_1) | instskip(NEXT) | instid1(SALU_CYCLE_1)
	s_and_b32 s29, s12, s13
	s_xor_b32 s29, s29, -1
	s_cbranch_vccz .LBB2_222
; %bb.217:                              ;   in Loop: Header=BB2_144 Depth=2
	v_mov_b32_e32 v12, v13
	s_and_saveexec_b32 vcc_hi, s29
	s_cbranch_execz .LBB2_221
; %bb.218:                              ;   in Loop: Header=BB2_144 Depth=2
	v_mov_b32_e32 v12, v17
	s_or_b32 s14, s12, s13
	s_delay_alu instid0(SALU_CYCLE_1)
	s_and_saveexec_b32 s30, s14
; %bb.219:                              ;   in Loop: Header=BB2_144 Depth=2
	v_lshrrev_b32_e32 v12, 16, v112
	v_cmp_lt_u16_e32 vcc_lo, 0x7c00, v103
	s_delay_alu instid0(VALU_DEP_2) | instskip(NEXT) | instid1(VALU_DEP_1)
	v_cmp_gt_f16_e64 s14, v112, v12
	v_cndmask_b32_e64 v12, v12, v112, s14
	s_and_b32 s14, s12, vcc_lo
	s_delay_alu instid0(VALU_DEP_1) | instid1(SALU_CYCLE_1)
	v_cndmask_b32_e64 v12, v12, 0x7fff, s14
; %bb.220:                              ;   in Loop: Header=BB2_144 Depth=2
	s_or_b32 exec_lo, exec_lo, s30
.LBB2_221:                              ;   in Loop: Header=BB2_144 Depth=2
	s_delay_alu instid0(SALU_CYCLE_1)
	s_or_b32 exec_lo, exec_lo, vcc_hi
	s_mov_b32 s14, 0
.LBB2_222:                              ;   in Loop: Header=BB2_144 Depth=2
	s_delay_alu instid0(SALU_CYCLE_1)
	s_and_not1_b32 vcc_lo, exec_lo, s14
	s_cbranch_vccnz .LBB2_228
; %bb.223:                              ;   in Loop: Header=BB2_144 Depth=2
	v_mov_b32_e32 v12, v13
	s_and_saveexec_b32 s14, s29
	s_cbranch_execz .LBB2_227
; %bb.224:                              ;   in Loop: Header=BB2_144 Depth=2
	v_mov_b32_e32 v12, v17
	s_or_b32 s13, s12, s13
	s_delay_alu instid0(SALU_CYCLE_1)
	s_and_saveexec_b32 s29, s13
; %bb.225:                              ;   in Loop: Header=BB2_144 Depth=2
	v_lshrrev_b32_e32 v12, 16, v112
	v_cmp_lt_u16_e32 vcc_lo, 0x7c00, v103
	s_delay_alu instid0(VALU_DEP_2) | instskip(SKIP_1) | instid1(VALU_DEP_1)
	v_cmp_gt_f16_e64 s13, v112, v12
	s_and_b32 s12, s12, vcc_lo
	v_cndmask_b32_e64 v12, v112, v12, s13
	s_delay_alu instid0(VALU_DEP_1)
	v_cndmask_b32_e64 v12, v12, 0x7fff, s12
; %bb.226:                              ;   in Loop: Header=BB2_144 Depth=2
	s_or_b32 exec_lo, exec_lo, s29
.LBB2_227:                              ;   in Loop: Header=BB2_144 Depth=2
	s_delay_alu instid0(SALU_CYCLE_1)
	s_or_b32 exec_lo, exec_lo, s14
.LBB2_228:                              ;   in Loop: Header=BB2_144 Depth=2
	v_lshrrev_b32_e32 v103, 16, v17
	v_lshrrev_b32_e32 v113, 16, v13
	v_perm_b32 v13, v13, v17, 0x7060302
	s_mov_b32 s14, -1
	s_and_b32 vcc_lo, exec_lo, s28
	v_and_b32_e32 v114, 0x7fff, v103
	v_and_b32_e32 v112, 0x7fff, v113
                                        ; implicit-def: $vgpr17
	s_delay_alu instid0(VALU_DEP_2) | instskip(NEXT) | instid1(VALU_DEP_2)
	v_cmp_lt_u16_e64 s12, 0x7c00, v114
	v_cmp_gt_u16_e64 s13, 0x7c01, v112
	s_delay_alu instid0(VALU_DEP_1) | instskip(NEXT) | instid1(SALU_CYCLE_1)
	s_and_b32 s29, s12, s13
	s_xor_b32 s29, s29, -1
	s_cbranch_vccz .LBB2_234
; %bb.229:                              ;   in Loop: Header=BB2_144 Depth=2
	v_mov_b32_e32 v17, v113
	s_and_saveexec_b32 vcc_hi, s29
	s_cbranch_execz .LBB2_233
; %bb.230:                              ;   in Loop: Header=BB2_144 Depth=2
	v_mov_b32_e32 v17, v103
	s_or_b32 s14, s12, s13
	s_delay_alu instid0(SALU_CYCLE_1)
	s_and_saveexec_b32 s30, s14
; %bb.231:                              ;   in Loop: Header=BB2_144 Depth=2
	v_lshrrev_b32_e32 v17, 16, v13
	v_cmp_lt_u16_e32 vcc_lo, 0x7c00, v112
	s_delay_alu instid0(VALU_DEP_2) | instskip(NEXT) | instid1(VALU_DEP_1)
	v_cmp_gt_f16_e64 s14, v13, v17
	v_cndmask_b32_e64 v17, v17, v13, s14
	s_and_b32 s14, s12, vcc_lo
	s_delay_alu instid0(VALU_DEP_1) | instid1(SALU_CYCLE_1)
	v_cndmask_b32_e64 v17, v17, 0x7fff, s14
; %bb.232:                              ;   in Loop: Header=BB2_144 Depth=2
	s_or_b32 exec_lo, exec_lo, s30
.LBB2_233:                              ;   in Loop: Header=BB2_144 Depth=2
	s_delay_alu instid0(SALU_CYCLE_1)
	s_or_b32 exec_lo, exec_lo, vcc_hi
	s_mov_b32 s14, 0
.LBB2_234:                              ;   in Loop: Header=BB2_144 Depth=2
	s_delay_alu instid0(SALU_CYCLE_1)
	s_and_not1_b32 vcc_lo, exec_lo, s14
	s_cbranch_vccnz .LBB2_143
; %bb.235:                              ;   in Loop: Header=BB2_144 Depth=2
	s_and_saveexec_b32 s14, s29
	s_cbranch_execz .LBB2_142
; %bb.236:                              ;   in Loop: Header=BB2_144 Depth=2
	s_or_b32 s13, s12, s13
	s_delay_alu instid0(SALU_CYCLE_1)
	s_and_saveexec_b32 s29, s13
	s_cbranch_execz .LBB2_141
; %bb.237:                              ;   in Loop: Header=BB2_144 Depth=2
	v_lshrrev_b32_e32 v17, 16, v13
	v_cmp_lt_u16_e32 vcc_lo, 0x7c00, v112
	s_delay_alu instid0(VALU_DEP_2) | instskip(SKIP_1) | instid1(VALU_DEP_1)
	v_cmp_gt_f16_e64 s13, v13, v17
	s_and_b32 s12, s12, vcc_lo
	v_cndmask_b32_e64 v13, v13, v17, s13
	s_delay_alu instid0(VALU_DEP_1)
	v_cndmask_b32_e64 v103, v13, 0x7fff, s12
	s_branch .LBB2_141
.LBB2_238:                              ;   in Loop: Header=BB2_53 Depth=1
	s_or_b32 exec_lo, exec_lo, s27
.LBB2_239:                              ;   in Loop: Header=BB2_53 Depth=1
	s_delay_alu instid0(SALU_CYCLE_1) | instskip(SKIP_4) | instid1(VALU_DEP_2)
	s_or_b32 exec_lo, exec_lo, s26
	v_and_b32_e32 v10, 14, v97
	v_mov_b32_e32 v16, 0
	s_mov_b32 s12, 0
	s_mov_b32 s26, exec_lo
                                        ; implicit-def: $vgpr97
                                        ; implicit-def: $vgpr17
	v_cndmask_b32_e64 v99, v100, v10, s11
	s_delay_alu instid0(VALU_DEP_1)
	v_cmpx_ne_u32_e32 0, v99
	s_cbranch_execz .LBB2_342
; %bb.240:                              ;   in Loop: Header=BB2_53 Depth=1
	v_cmp_lt_i32_e32 vcc_lo, 0, v101
	v_ashrrev_i32_e32 v13, 31, v99
	s_mov_b32 s27, exec_lo
	v_cndmask_b32_e32 v11, 0, v66, vcc_lo
	s_delay_alu instid0(VALU_DEP_2) | instskip(NEXT) | instid1(VALU_DEP_2)
	v_lshrrev_b32_e32 v13, 23, v13
	v_sub_nc_u32_e32 v11, v11, v101
	s_delay_alu instid0(VALU_DEP_2) | instskip(NEXT) | instid1(VALU_DEP_2)
	v_add_nc_u32_e32 v13, v99, v13
	v_lshl_add_u32 v11, v11, 5, v70
	s_delay_alu instid0(VALU_DEP_2) | instskip(SKIP_1) | instid1(VALU_DEP_3)
	v_and_b32_e32 v102, 0xfffffe00, v13
	v_ashrrev_i32_e32 v13, 9, v13
	v_ashrrev_i32_e32 v12, 31, v11
	s_delay_alu instid0(VALU_DEP_3) | instskip(NEXT) | instid1(VALU_DEP_2)
	v_sub_nc_u32_e32 v97, v99, v102
	v_lshrrev_b32_e32 v12, 27, v12
	s_delay_alu instid0(VALU_DEP_1) | instskip(NEXT) | instid1(VALU_DEP_1)
	v_add_nc_u32_e32 v12, v11, v12
	v_and_b32_e32 v14, 0xffffffe0, v12
	s_delay_alu instid0(VALU_DEP_1) | instskip(SKIP_2) | instid1(VALU_DEP_3)
	v_sub_nc_u32_e32 v101, v11, v14
	v_ashrrev_i32_e32 v11, 5, v12
	v_sub_nc_u32_e32 v14, v100, v10
	v_lshlrev_b32_e32 v12, 4, v101
	s_delay_alu instid0(VALU_DEP_1) | instskip(NEXT) | instid1(VALU_DEP_3)
	v_lshl_add_u32 v10, v11, 9, v12
	v_cndmask_b32_e64 v12, 0, v14, s11
	v_cmp_lt_i32_e64 s11, 15, v97
	s_delay_alu instid0(VALU_DEP_3) | instskip(NEXT) | instid1(VALU_DEP_3)
	v_sub_nc_u32_e32 v103, v99, v10
	v_add_nc_u32_e32 v98, v12, v98
	s_delay_alu instid0(VALU_DEP_3) | instskip(NEXT) | instid1(VALU_DEP_1)
	v_add_co_ci_u32_e64 v13, vcc_lo, 0, v13, s11
	v_sub_nc_u32_e32 v100, v13, v11
	s_delay_alu instid0(VALU_DEP_4)
	v_cmpx_lt_i32_e32 15, v103
	s_cbranch_execz .LBB2_341
; %bb.241:                              ;   in Loop: Header=BB2_53 Depth=1
	s_cbranch_execnz .LBB2_1418
; %bb.242:                              ;   in Loop: Header=BB2_53 Depth=1
	ds_load_b128 v[11:14], v0
	ds_load_b64 v[15:16], v0
	v_add_nc_u32_e32 v10, v10, v98
	s_bitcmp1_b32 s25, 0
	s_mov_b32 s28, 0
	s_cselect_b32 s29, -1, 0
	s_delay_alu instid0(VALU_DEP_1) | instskip(SKIP_2) | instid1(VALU_DEP_2)
	v_ashrrev_i32_e32 v17, 31, v10
	s_waitcnt lgkmcnt(1)
	v_add_co_u32 v50, vcc_lo, v11, v10
	v_add_co_ci_u32_e32 v51, vcc_lo, v12, v17, vcc_lo
	v_add_co_u32 v52, vcc_lo, v13, v10
	v_add_co_ci_u32_e32 v53, vcc_lo, v14, v17, vcc_lo
	s_waitcnt lgkmcnt(0)
	v_add_co_u32 v54, vcc_lo, v15, v10
	v_add_co_ci_u32_e32 v55, vcc_lo, v16, v17, vcc_lo
	s_branch .LBB2_246
.LBB2_243:                              ;   in Loop: Header=BB2_246 Depth=2
	s_or_b32 exec_lo, exec_lo, vcc_hi
	s_delay_alu instid0(VALU_DEP_1)
	v_mov_b32_e32 v115, v113
.LBB2_244:                              ;   in Loop: Header=BB2_246 Depth=2
	s_or_b32 exec_lo, exec_lo, s14
	s_delay_alu instid0(VALU_DEP_1)
	v_mov_b32_e32 v17, v115
.LBB2_245:                              ;   in Loop: Header=BB2_246 Depth=2
	v_lshlrev_b32_e32 v10, 16, v10
	v_and_b32_e32 v13, 0xffff, v112
	v_lshlrev_b32_e32 v16, 16, v16
	v_and_b32_e32 v15, 0xffff, v15
	;; [unrolled: 2-line block ×3, first 2 shown]
	v_or_b32_e32 v10, v10, v13
	v_lshlrev_b32_e32 v13, 16, v17
	v_and_b32_e32 v12, 0xffff, v12
	v_or_b32_e32 v15, v16, v15
	v_add_co_u32 v50, vcc_lo, v50, v81
	v_or3_b32 v11, v14, v11, 0
	v_or3_b32 v10, 0, 0, v10
	;; [unrolled: 1-line block ×4, first 2 shown]
	v_sub_nc_u32_e32 v103, v103, v68
	v_add_co_ci_u32_e32 v51, vcc_lo, v51, v82, vcc_lo
	v_add_co_u32 v52, vcc_lo, v52, v81
	v_add_co_ci_u32_e32 v53, vcc_lo, v53, v82, vcc_lo
	global_store_b128 v[54:55], v[10:13], off glc slc dlc
	v_cmp_gt_i32_e32 vcc_lo, 16, v103
	v_add_co_u32 v54, s12, v54, v81
	s_delay_alu instid0(VALU_DEP_1) | instskip(SKIP_2) | instid1(SALU_CYCLE_1)
	v_add_co_ci_u32_e64 v55, s12, v55, v82, s12
	v_sub_nc_u32_e32 v100, v100, v66
	s_or_b32 s28, vcc_lo, s28
	s_and_not1_b32 exec_lo, exec_lo, s28
	s_cbranch_execz .LBB2_340
.LBB2_246:                              ;   Parent Loop BB2_53 Depth=1
                                        ; =>  This Inner Loop Header: Depth=2
	global_load_b128 v[14:17], v[50:51], off slc dlc
	global_load_b128 v[10:13], v[52:53], off slc dlc
	s_mov_b32 s14, -1
	s_and_b32 vcc_lo, exec_lo, s29
	s_waitcnt vmcnt(1)
	v_and_b32_e32 v112, 0x7fff, v14
	s_waitcnt vmcnt(0)
	v_and_b32_e32 v113, 0x7fff, v10
	v_perm_b32 v114, v10, v14, 0x5040100
	s_delay_alu instid0(VALU_DEP_3) | instskip(NEXT) | instid1(VALU_DEP_3)
	v_cmp_lt_u16_e64 s12, 0x7c00, v112
	v_cmp_gt_u16_e64 s13, 0x7c01, v113
                                        ; implicit-def: $vgpr112
	s_delay_alu instid0(VALU_DEP_1) | instskip(NEXT) | instid1(SALU_CYCLE_1)
	s_and_b32 vcc_hi, s12, s13
	s_xor_b32 vcc_hi, vcc_hi, -1
	s_cbranch_vccz .LBB2_252
; %bb.247:                              ;   in Loop: Header=BB2_246 Depth=2
	v_mov_b32_e32 v112, v10
	s_and_saveexec_b32 s30, vcc_hi
	s_cbranch_execz .LBB2_251
; %bb.248:                              ;   in Loop: Header=BB2_246 Depth=2
	v_mov_b32_e32 v112, v14
	s_or_b32 s14, s12, s13
	s_delay_alu instid0(SALU_CYCLE_1)
	s_and_saveexec_b32 s31, s14
; %bb.249:                              ;   in Loop: Header=BB2_246 Depth=2
	v_lshrrev_b32_e32 v112, 16, v114
	v_cmp_lt_u16_e32 vcc_lo, 0x7c00, v113
	s_delay_alu instid0(VALU_DEP_2) | instskip(NEXT) | instid1(VALU_DEP_1)
	v_cmp_gt_f16_e64 s14, v114, v112
	v_cndmask_b32_e64 v112, v112, v114, s14
	s_and_b32 s14, s12, vcc_lo
	s_delay_alu instid0(VALU_DEP_1) | instid1(SALU_CYCLE_1)
	v_cndmask_b32_e64 v112, v112, 0x7fff, s14
; %bb.250:                              ;   in Loop: Header=BB2_246 Depth=2
	s_or_b32 exec_lo, exec_lo, s31
.LBB2_251:                              ;   in Loop: Header=BB2_246 Depth=2
	s_delay_alu instid0(SALU_CYCLE_1)
	s_or_b32 exec_lo, exec_lo, s30
	s_mov_b32 s14, 0
.LBB2_252:                              ;   in Loop: Header=BB2_246 Depth=2
	s_delay_alu instid0(SALU_CYCLE_1)
	s_and_not1_b32 vcc_lo, exec_lo, s14
	s_cbranch_vccnz .LBB2_258
; %bb.253:                              ;   in Loop: Header=BB2_246 Depth=2
	v_mov_b32_e32 v112, v10
	s_and_saveexec_b32 s14, vcc_hi
	s_cbranch_execz .LBB2_257
; %bb.254:                              ;   in Loop: Header=BB2_246 Depth=2
	v_mov_b32_e32 v112, v14
	s_or_b32 s13, s12, s13
	s_delay_alu instid0(SALU_CYCLE_1)
	s_and_saveexec_b32 vcc_hi, s13
; %bb.255:                              ;   in Loop: Header=BB2_246 Depth=2
	v_lshrrev_b32_e32 v112, 16, v114
	v_cmp_lt_u16_e32 vcc_lo, 0x7c00, v113
	s_delay_alu instid0(VALU_DEP_2) | instskip(SKIP_1) | instid1(VALU_DEP_1)
	v_cmp_gt_f16_e64 s13, v114, v112
	s_and_b32 s12, s12, vcc_lo
	v_cndmask_b32_e64 v112, v114, v112, s13
	s_delay_alu instid0(VALU_DEP_1)
	v_cndmask_b32_e64 v112, v112, 0x7fff, s12
; %bb.256:                              ;   in Loop: Header=BB2_246 Depth=2
	s_or_b32 exec_lo, exec_lo, vcc_hi
.LBB2_257:                              ;   in Loop: Header=BB2_246 Depth=2
	s_delay_alu instid0(SALU_CYCLE_1)
	s_or_b32 exec_lo, exec_lo, s14
.LBB2_258:                              ;   in Loop: Header=BB2_246 Depth=2
	v_mov_b32_e32 v116, v14
	v_mov_b32_e32 v14, v15
	;; [unrolled: 1-line block ×3, first 2 shown]
	s_mov_b32 s14, -1
	s_and_b32 vcc_lo, exec_lo, s29
	v_lshrrev_b32_e32 v113, 16, v116
	s_delay_alu instid0(VALU_DEP_1) | instskip(NEXT) | instid1(VALU_DEP_1)
	v_dual_mov_b32 v117, v10 :: v_dual_and_b32 v10, 0x7fff, v113
	v_lshrrev_b32_e32 v115, 16, v117
	v_perm_b32 v11, v117, v116, 0x7060302
	s_delay_alu instid0(VALU_DEP_3) | instskip(NEXT) | instid1(VALU_DEP_3)
	v_cmp_lt_u16_e64 s12, 0x7c00, v10
	v_and_b32_e32 v114, 0x7fff, v115
                                        ; implicit-def: $vgpr10
	s_delay_alu instid0(VALU_DEP_1) | instskip(NEXT) | instid1(VALU_DEP_1)
	v_cmp_gt_u16_e64 s13, 0x7c01, v114
	s_and_b32 vcc_hi, s12, s13
	s_delay_alu instid0(SALU_CYCLE_1)
	s_xor_b32 vcc_hi, vcc_hi, -1
	s_cbranch_vccz .LBB2_264
; %bb.259:                              ;   in Loop: Header=BB2_246 Depth=2
	v_mov_b32_e32 v10, v115
	s_and_saveexec_b32 s30, vcc_hi
	s_cbranch_execz .LBB2_263
; %bb.260:                              ;   in Loop: Header=BB2_246 Depth=2
	v_mov_b32_e32 v10, v113
	s_or_b32 s14, s12, s13
	s_delay_alu instid0(SALU_CYCLE_1)
	s_and_saveexec_b32 s31, s14
; %bb.261:                              ;   in Loop: Header=BB2_246 Depth=2
	v_lshrrev_b32_e32 v10, 16, v11
	v_cmp_lt_u16_e32 vcc_lo, 0x7c00, v114
	s_delay_alu instid0(VALU_DEP_2) | instskip(NEXT) | instid1(VALU_DEP_1)
	v_cmp_gt_f16_e64 s14, v11, v10
	v_cndmask_b32_e64 v10, v10, v11, s14
	s_and_b32 s14, s12, vcc_lo
	s_delay_alu instid0(VALU_DEP_1) | instid1(SALU_CYCLE_1)
	v_cndmask_b32_e64 v10, v10, 0x7fff, s14
; %bb.262:                              ;   in Loop: Header=BB2_246 Depth=2
	s_or_b32 exec_lo, exec_lo, s31
.LBB2_263:                              ;   in Loop: Header=BB2_246 Depth=2
	s_delay_alu instid0(SALU_CYCLE_1)
	s_or_b32 exec_lo, exec_lo, s30
	s_mov_b32 s14, 0
.LBB2_264:                              ;   in Loop: Header=BB2_246 Depth=2
	s_delay_alu instid0(SALU_CYCLE_1)
	s_and_not1_b32 vcc_lo, exec_lo, s14
	s_cbranch_vccnz .LBB2_270
; %bb.265:                              ;   in Loop: Header=BB2_246 Depth=2
	s_and_saveexec_b32 s14, vcc_hi
	s_cbranch_execz .LBB2_269
; %bb.266:                              ;   in Loop: Header=BB2_246 Depth=2
	s_or_b32 s13, s12, s13
	s_delay_alu instid0(SALU_CYCLE_1)
	s_and_saveexec_b32 vcc_hi, s13
; %bb.267:                              ;   in Loop: Header=BB2_246 Depth=2
	v_lshrrev_b32_e32 v10, 16, v11
	v_cmp_lt_u16_e32 vcc_lo, 0x7c00, v114
	s_delay_alu instid0(VALU_DEP_2) | instskip(SKIP_1) | instid1(VALU_DEP_1)
	v_cmp_gt_f16_e64 s13, v11, v10
	s_and_b32 s12, s12, vcc_lo
	v_cndmask_b32_e64 v10, v11, v10, s13
	s_delay_alu instid0(VALU_DEP_1)
	v_cndmask_b32_e64 v113, v10, 0x7fff, s12
; %bb.268:                              ;   in Loop: Header=BB2_246 Depth=2
	s_or_b32 exec_lo, exec_lo, vcc_hi
	s_delay_alu instid0(VALU_DEP_1)
	v_mov_b32_e32 v115, v113
.LBB2_269:                              ;   in Loop: Header=BB2_246 Depth=2
	s_or_b32 exec_lo, exec_lo, s14
	s_delay_alu instid0(VALU_DEP_1)
	v_mov_b32_e32 v10, v115
.LBB2_270:                              ;   in Loop: Header=BB2_246 Depth=2
	v_and_b32_e32 v11, 0x7fff, v14
	v_and_b32_e32 v113, 0x7fff, v15
	v_perm_b32 v114, v15, v14, 0x5040100
	s_mov_b32 s14, -1
	s_and_b32 vcc_lo, exec_lo, s29
	v_cmp_lt_u16_e64 s12, 0x7c00, v11
	v_cmp_gt_u16_e64 s13, 0x7c01, v113
                                        ; implicit-def: $vgpr11
	s_delay_alu instid0(VALU_DEP_1) | instskip(NEXT) | instid1(SALU_CYCLE_1)
	s_and_b32 vcc_hi, s12, s13
	s_xor_b32 vcc_hi, vcc_hi, -1
	s_cbranch_vccz .LBB2_276
; %bb.271:                              ;   in Loop: Header=BB2_246 Depth=2
	v_mov_b32_e32 v11, v15
	s_and_saveexec_b32 s30, vcc_hi
	s_cbranch_execz .LBB2_275
; %bb.272:                              ;   in Loop: Header=BB2_246 Depth=2
	v_mov_b32_e32 v11, v14
	s_or_b32 s14, s12, s13
	s_delay_alu instid0(SALU_CYCLE_1)
	s_and_saveexec_b32 s31, s14
; %bb.273:                              ;   in Loop: Header=BB2_246 Depth=2
	v_lshrrev_b32_e32 v11, 16, v114
	v_cmp_lt_u16_e32 vcc_lo, 0x7c00, v113
	s_delay_alu instid0(VALU_DEP_2) | instskip(NEXT) | instid1(VALU_DEP_1)
	v_cmp_gt_f16_e64 s14, v114, v11
	v_cndmask_b32_e64 v11, v11, v114, s14
	s_and_b32 s14, s12, vcc_lo
	s_delay_alu instid0(VALU_DEP_1) | instid1(SALU_CYCLE_1)
	v_cndmask_b32_e64 v11, v11, 0x7fff, s14
; %bb.274:                              ;   in Loop: Header=BB2_246 Depth=2
	s_or_b32 exec_lo, exec_lo, s31
.LBB2_275:                              ;   in Loop: Header=BB2_246 Depth=2
	s_delay_alu instid0(SALU_CYCLE_1)
	s_or_b32 exec_lo, exec_lo, s30
	s_mov_b32 s14, 0
.LBB2_276:                              ;   in Loop: Header=BB2_246 Depth=2
	s_delay_alu instid0(SALU_CYCLE_1)
	s_and_not1_b32 vcc_lo, exec_lo, s14
	s_cbranch_vccnz .LBB2_282
; %bb.277:                              ;   in Loop: Header=BB2_246 Depth=2
	v_mov_b32_e32 v11, v15
	s_and_saveexec_b32 s14, vcc_hi
	s_cbranch_execz .LBB2_281
; %bb.278:                              ;   in Loop: Header=BB2_246 Depth=2
	v_mov_b32_e32 v11, v14
	s_or_b32 s13, s12, s13
	s_delay_alu instid0(SALU_CYCLE_1)
	s_and_saveexec_b32 vcc_hi, s13
; %bb.279:                              ;   in Loop: Header=BB2_246 Depth=2
	v_lshrrev_b32_e32 v11, 16, v114
	v_cmp_lt_u16_e32 vcc_lo, 0x7c00, v113
	s_delay_alu instid0(VALU_DEP_2) | instskip(SKIP_1) | instid1(VALU_DEP_1)
	v_cmp_gt_f16_e64 s13, v114, v11
	s_and_b32 s12, s12, vcc_lo
	v_cndmask_b32_e64 v11, v114, v11, s13
	s_delay_alu instid0(VALU_DEP_1)
	v_cndmask_b32_e64 v11, v11, 0x7fff, s12
; %bb.280:                              ;   in Loop: Header=BB2_246 Depth=2
	s_or_b32 exec_lo, exec_lo, vcc_hi
.LBB2_281:                              ;   in Loop: Header=BB2_246 Depth=2
	s_delay_alu instid0(SALU_CYCLE_1)
	s_or_b32 exec_lo, exec_lo, s14
.LBB2_282:                              ;   in Loop: Header=BB2_246 Depth=2
	v_lshrrev_b32_e32 v113, 16, v14
	v_lshrrev_b32_e32 v115, 16, v15
	v_perm_b32 v15, v15, v14, 0x7060302
	s_mov_b32 s14, -1
	s_and_b32 vcc_lo, exec_lo, s29
	v_and_b32_e32 v116, 0x7fff, v113
	v_and_b32_e32 v114, 0x7fff, v115
                                        ; implicit-def: $vgpr14
	s_delay_alu instid0(VALU_DEP_2) | instskip(NEXT) | instid1(VALU_DEP_2)
	v_cmp_lt_u16_e64 s12, 0x7c00, v116
	v_cmp_gt_u16_e64 s13, 0x7c01, v114
	s_delay_alu instid0(VALU_DEP_1) | instskip(NEXT) | instid1(SALU_CYCLE_1)
	s_and_b32 vcc_hi, s12, s13
	s_xor_b32 vcc_hi, vcc_hi, -1
	s_cbranch_vccz .LBB2_288
; %bb.283:                              ;   in Loop: Header=BB2_246 Depth=2
	v_mov_b32_e32 v14, v115
	s_and_saveexec_b32 s30, vcc_hi
	s_cbranch_execz .LBB2_287
; %bb.284:                              ;   in Loop: Header=BB2_246 Depth=2
	v_mov_b32_e32 v14, v113
	s_or_b32 s14, s12, s13
	s_delay_alu instid0(SALU_CYCLE_1)
	s_and_saveexec_b32 s31, s14
; %bb.285:                              ;   in Loop: Header=BB2_246 Depth=2
	v_lshrrev_b32_e32 v14, 16, v15
	v_cmp_lt_u16_e32 vcc_lo, 0x7c00, v114
	s_delay_alu instid0(VALU_DEP_2) | instskip(NEXT) | instid1(VALU_DEP_1)
	v_cmp_gt_f16_e64 s14, v15, v14
	v_cndmask_b32_e64 v14, v14, v15, s14
	s_and_b32 s14, s12, vcc_lo
	s_delay_alu instid0(VALU_DEP_1) | instid1(SALU_CYCLE_1)
	v_cndmask_b32_e64 v14, v14, 0x7fff, s14
; %bb.286:                              ;   in Loop: Header=BB2_246 Depth=2
	s_or_b32 exec_lo, exec_lo, s31
.LBB2_287:                              ;   in Loop: Header=BB2_246 Depth=2
	s_delay_alu instid0(SALU_CYCLE_1)
	s_or_b32 exec_lo, exec_lo, s30
	s_mov_b32 s14, 0
.LBB2_288:                              ;   in Loop: Header=BB2_246 Depth=2
	s_delay_alu instid0(SALU_CYCLE_1)
	s_and_not1_b32 vcc_lo, exec_lo, s14
	s_cbranch_vccnz .LBB2_294
; %bb.289:                              ;   in Loop: Header=BB2_246 Depth=2
	s_and_saveexec_b32 s14, vcc_hi
	s_cbranch_execz .LBB2_293
; %bb.290:                              ;   in Loop: Header=BB2_246 Depth=2
	s_or_b32 s13, s12, s13
	s_delay_alu instid0(SALU_CYCLE_1)
	s_and_saveexec_b32 vcc_hi, s13
; %bb.291:                              ;   in Loop: Header=BB2_246 Depth=2
	v_lshrrev_b32_e32 v14, 16, v15
	v_cmp_lt_u16_e32 vcc_lo, 0x7c00, v114
	s_delay_alu instid0(VALU_DEP_2) | instskip(SKIP_1) | instid1(VALU_DEP_1)
	v_cmp_gt_f16_e64 s13, v15, v14
	s_and_b32 s12, s12, vcc_lo
	v_cndmask_b32_e64 v14, v15, v14, s13
	s_delay_alu instid0(VALU_DEP_1)
	v_cndmask_b32_e64 v113, v14, 0x7fff, s12
; %bb.292:                              ;   in Loop: Header=BB2_246 Depth=2
	s_or_b32 exec_lo, exec_lo, vcc_hi
	s_delay_alu instid0(VALU_DEP_1)
	v_mov_b32_e32 v115, v113
.LBB2_293:                              ;   in Loop: Header=BB2_246 Depth=2
	s_or_b32 exec_lo, exec_lo, s14
	s_delay_alu instid0(VALU_DEP_1)
	v_mov_b32_e32 v14, v115
.LBB2_294:                              ;   in Loop: Header=BB2_246 Depth=2
	v_and_b32_e32 v15, 0x7fff, v16
	v_and_b32_e32 v113, 0x7fff, v12
	v_perm_b32 v114, v12, v16, 0x5040100
	s_mov_b32 s14, -1
	s_and_b32 vcc_lo, exec_lo, s29
	v_cmp_lt_u16_e64 s12, 0x7c00, v15
	v_cmp_gt_u16_e64 s13, 0x7c01, v113
                                        ; implicit-def: $vgpr15
	s_delay_alu instid0(VALU_DEP_1) | instskip(NEXT) | instid1(SALU_CYCLE_1)
	s_and_b32 vcc_hi, s12, s13
	s_xor_b32 vcc_hi, vcc_hi, -1
	s_cbranch_vccz .LBB2_300
; %bb.295:                              ;   in Loop: Header=BB2_246 Depth=2
	v_mov_b32_e32 v15, v12
	s_and_saveexec_b32 s30, vcc_hi
	s_cbranch_execz .LBB2_299
; %bb.296:                              ;   in Loop: Header=BB2_246 Depth=2
	v_mov_b32_e32 v15, v16
	s_or_b32 s14, s12, s13
	s_delay_alu instid0(SALU_CYCLE_1)
	s_and_saveexec_b32 s31, s14
; %bb.297:                              ;   in Loop: Header=BB2_246 Depth=2
	v_lshrrev_b32_e32 v15, 16, v114
	v_cmp_lt_u16_e32 vcc_lo, 0x7c00, v113
	s_delay_alu instid0(VALU_DEP_2) | instskip(NEXT) | instid1(VALU_DEP_1)
	v_cmp_gt_f16_e64 s14, v114, v15
	v_cndmask_b32_e64 v15, v15, v114, s14
	s_and_b32 s14, s12, vcc_lo
	s_delay_alu instid0(VALU_DEP_1) | instid1(SALU_CYCLE_1)
	v_cndmask_b32_e64 v15, v15, 0x7fff, s14
; %bb.298:                              ;   in Loop: Header=BB2_246 Depth=2
	s_or_b32 exec_lo, exec_lo, s31
.LBB2_299:                              ;   in Loop: Header=BB2_246 Depth=2
	s_delay_alu instid0(SALU_CYCLE_1)
	s_or_b32 exec_lo, exec_lo, s30
	s_mov_b32 s14, 0
.LBB2_300:                              ;   in Loop: Header=BB2_246 Depth=2
	s_delay_alu instid0(SALU_CYCLE_1)
	s_and_not1_b32 vcc_lo, exec_lo, s14
	s_cbranch_vccnz .LBB2_306
; %bb.301:                              ;   in Loop: Header=BB2_246 Depth=2
	v_mov_b32_e32 v15, v12
	s_and_saveexec_b32 s14, vcc_hi
	s_cbranch_execz .LBB2_305
; %bb.302:                              ;   in Loop: Header=BB2_246 Depth=2
	v_mov_b32_e32 v15, v16
	s_or_b32 s13, s12, s13
	s_delay_alu instid0(SALU_CYCLE_1)
	s_and_saveexec_b32 vcc_hi, s13
; %bb.303:                              ;   in Loop: Header=BB2_246 Depth=2
	v_lshrrev_b32_e32 v15, 16, v114
	v_cmp_lt_u16_e32 vcc_lo, 0x7c00, v113
	s_delay_alu instid0(VALU_DEP_2) | instskip(SKIP_1) | instid1(VALU_DEP_1)
	v_cmp_gt_f16_e64 s13, v114, v15
	s_and_b32 s12, s12, vcc_lo
	v_cndmask_b32_e64 v15, v114, v15, s13
	s_delay_alu instid0(VALU_DEP_1)
	v_cndmask_b32_e64 v15, v15, 0x7fff, s12
; %bb.304:                              ;   in Loop: Header=BB2_246 Depth=2
	s_or_b32 exec_lo, exec_lo, vcc_hi
.LBB2_305:                              ;   in Loop: Header=BB2_246 Depth=2
	s_delay_alu instid0(SALU_CYCLE_1)
	s_or_b32 exec_lo, exec_lo, s14
.LBB2_306:                              ;   in Loop: Header=BB2_246 Depth=2
	v_mov_b32_e32 v116, v16
	v_lshrrev_b32_e32 v115, 16, v12
	s_mov_b32 s14, -1
	s_and_b32 vcc_lo, exec_lo, s29
	s_delay_alu instid0(VALU_DEP_2) | instskip(NEXT) | instid1(VALU_DEP_2)
	v_lshrrev_b32_e32 v113, 16, v116
	v_and_b32_e32 v114, 0x7fff, v115
	v_perm_b32 v12, v12, v116, 0x7060302
	s_delay_alu instid0(VALU_DEP_3) | instskip(NEXT) | instid1(VALU_DEP_3)
	v_and_b32_e32 v16, 0x7fff, v113
	v_cmp_gt_u16_e64 s13, 0x7c01, v114
	s_delay_alu instid0(VALU_DEP_2) | instskip(NEXT) | instid1(VALU_DEP_1)
	v_cmp_lt_u16_e64 s12, 0x7c00, v16
                                        ; implicit-def: $vgpr16
	s_and_b32 vcc_hi, s12, s13
	s_delay_alu instid0(SALU_CYCLE_1)
	s_xor_b32 vcc_hi, vcc_hi, -1
	s_cbranch_vccz .LBB2_312
; %bb.307:                              ;   in Loop: Header=BB2_246 Depth=2
	v_mov_b32_e32 v16, v115
	s_and_saveexec_b32 s30, vcc_hi
	s_cbranch_execz .LBB2_311
; %bb.308:                              ;   in Loop: Header=BB2_246 Depth=2
	v_mov_b32_e32 v16, v113
	s_or_b32 s14, s12, s13
	s_delay_alu instid0(SALU_CYCLE_1)
	s_and_saveexec_b32 s31, s14
; %bb.309:                              ;   in Loop: Header=BB2_246 Depth=2
	v_lshrrev_b32_e32 v16, 16, v12
	v_cmp_lt_u16_e32 vcc_lo, 0x7c00, v114
	s_delay_alu instid0(VALU_DEP_2) | instskip(NEXT) | instid1(VALU_DEP_1)
	v_cmp_gt_f16_e64 s14, v12, v16
	v_cndmask_b32_e64 v16, v16, v12, s14
	s_and_b32 s14, s12, vcc_lo
	s_delay_alu instid0(VALU_DEP_1) | instid1(SALU_CYCLE_1)
	v_cndmask_b32_e64 v16, v16, 0x7fff, s14
; %bb.310:                              ;   in Loop: Header=BB2_246 Depth=2
	s_or_b32 exec_lo, exec_lo, s31
.LBB2_311:                              ;   in Loop: Header=BB2_246 Depth=2
	s_delay_alu instid0(SALU_CYCLE_1)
	s_or_b32 exec_lo, exec_lo, s30
	s_mov_b32 s14, 0
.LBB2_312:                              ;   in Loop: Header=BB2_246 Depth=2
	s_delay_alu instid0(SALU_CYCLE_1)
	s_and_not1_b32 vcc_lo, exec_lo, s14
	s_cbranch_vccnz .LBB2_318
; %bb.313:                              ;   in Loop: Header=BB2_246 Depth=2
	s_and_saveexec_b32 s14, vcc_hi
	s_cbranch_execz .LBB2_317
; %bb.314:                              ;   in Loop: Header=BB2_246 Depth=2
	s_or_b32 s13, s12, s13
	s_delay_alu instid0(SALU_CYCLE_1)
	s_and_saveexec_b32 vcc_hi, s13
; %bb.315:                              ;   in Loop: Header=BB2_246 Depth=2
	v_lshrrev_b32_e32 v16, 16, v12
	v_cmp_lt_u16_e32 vcc_lo, 0x7c00, v114
	s_delay_alu instid0(VALU_DEP_2) | instskip(SKIP_1) | instid1(VALU_DEP_1)
	v_cmp_gt_f16_e64 s13, v12, v16
	s_and_b32 s12, s12, vcc_lo
	v_cndmask_b32_e64 v12, v12, v16, s13
	s_delay_alu instid0(VALU_DEP_1)
	v_cndmask_b32_e64 v113, v12, 0x7fff, s12
; %bb.316:                              ;   in Loop: Header=BB2_246 Depth=2
	s_or_b32 exec_lo, exec_lo, vcc_hi
	s_delay_alu instid0(VALU_DEP_1)
	v_mov_b32_e32 v115, v113
.LBB2_317:                              ;   in Loop: Header=BB2_246 Depth=2
	s_or_b32 exec_lo, exec_lo, s14
	s_delay_alu instid0(VALU_DEP_1)
	v_mov_b32_e32 v16, v115
.LBB2_318:                              ;   in Loop: Header=BB2_246 Depth=2
	v_and_b32_e32 v12, 0x7fff, v17
	v_and_b32_e32 v113, 0x7fff, v13
	v_perm_b32 v114, v13, v17, 0x5040100
	s_mov_b32 s14, -1
	s_and_b32 vcc_lo, exec_lo, s29
	v_cmp_lt_u16_e64 s12, 0x7c00, v12
	v_cmp_gt_u16_e64 s13, 0x7c01, v113
                                        ; implicit-def: $vgpr12
	s_delay_alu instid0(VALU_DEP_1) | instskip(NEXT) | instid1(SALU_CYCLE_1)
	s_and_b32 vcc_hi, s12, s13
	s_xor_b32 vcc_hi, vcc_hi, -1
	s_cbranch_vccz .LBB2_324
; %bb.319:                              ;   in Loop: Header=BB2_246 Depth=2
	v_mov_b32_e32 v12, v13
	s_and_saveexec_b32 s30, vcc_hi
	s_cbranch_execz .LBB2_323
; %bb.320:                              ;   in Loop: Header=BB2_246 Depth=2
	v_mov_b32_e32 v12, v17
	s_or_b32 s14, s12, s13
	s_delay_alu instid0(SALU_CYCLE_1)
	s_and_saveexec_b32 s31, s14
; %bb.321:                              ;   in Loop: Header=BB2_246 Depth=2
	v_lshrrev_b32_e32 v12, 16, v114
	v_cmp_lt_u16_e32 vcc_lo, 0x7c00, v113
	s_delay_alu instid0(VALU_DEP_2) | instskip(NEXT) | instid1(VALU_DEP_1)
	v_cmp_gt_f16_e64 s14, v114, v12
	v_cndmask_b32_e64 v12, v12, v114, s14
	s_and_b32 s14, s12, vcc_lo
	s_delay_alu instid0(VALU_DEP_1) | instid1(SALU_CYCLE_1)
	v_cndmask_b32_e64 v12, v12, 0x7fff, s14
; %bb.322:                              ;   in Loop: Header=BB2_246 Depth=2
	s_or_b32 exec_lo, exec_lo, s31
.LBB2_323:                              ;   in Loop: Header=BB2_246 Depth=2
	s_delay_alu instid0(SALU_CYCLE_1)
	s_or_b32 exec_lo, exec_lo, s30
	s_mov_b32 s14, 0
.LBB2_324:                              ;   in Loop: Header=BB2_246 Depth=2
	s_delay_alu instid0(SALU_CYCLE_1)
	s_and_not1_b32 vcc_lo, exec_lo, s14
	s_cbranch_vccnz .LBB2_330
; %bb.325:                              ;   in Loop: Header=BB2_246 Depth=2
	v_mov_b32_e32 v12, v13
	s_and_saveexec_b32 s14, vcc_hi
	s_cbranch_execz .LBB2_329
; %bb.326:                              ;   in Loop: Header=BB2_246 Depth=2
	v_mov_b32_e32 v12, v17
	s_or_b32 s13, s12, s13
	s_delay_alu instid0(SALU_CYCLE_1)
	s_and_saveexec_b32 vcc_hi, s13
; %bb.327:                              ;   in Loop: Header=BB2_246 Depth=2
	v_lshrrev_b32_e32 v12, 16, v114
	v_cmp_lt_u16_e32 vcc_lo, 0x7c00, v113
	s_delay_alu instid0(VALU_DEP_2) | instskip(SKIP_1) | instid1(VALU_DEP_1)
	v_cmp_gt_f16_e64 s13, v114, v12
	s_and_b32 s12, s12, vcc_lo
	v_cndmask_b32_e64 v12, v114, v12, s13
	s_delay_alu instid0(VALU_DEP_1)
	v_cndmask_b32_e64 v12, v12, 0x7fff, s12
; %bb.328:                              ;   in Loop: Header=BB2_246 Depth=2
	s_or_b32 exec_lo, exec_lo, vcc_hi
.LBB2_329:                              ;   in Loop: Header=BB2_246 Depth=2
	s_delay_alu instid0(SALU_CYCLE_1)
	s_or_b32 exec_lo, exec_lo, s14
.LBB2_330:                              ;   in Loop: Header=BB2_246 Depth=2
	v_lshrrev_b32_e32 v113, 16, v17
	v_lshrrev_b32_e32 v115, 16, v13
	v_perm_b32 v13, v13, v17, 0x7060302
	s_mov_b32 s14, -1
	s_and_b32 vcc_lo, exec_lo, s29
	v_and_b32_e32 v116, 0x7fff, v113
	v_and_b32_e32 v114, 0x7fff, v115
                                        ; implicit-def: $vgpr17
	s_delay_alu instid0(VALU_DEP_2) | instskip(NEXT) | instid1(VALU_DEP_2)
	v_cmp_lt_u16_e64 s12, 0x7c00, v116
	v_cmp_gt_u16_e64 s13, 0x7c01, v114
	s_delay_alu instid0(VALU_DEP_1) | instskip(NEXT) | instid1(SALU_CYCLE_1)
	s_and_b32 vcc_hi, s12, s13
	s_xor_b32 vcc_hi, vcc_hi, -1
	s_cbranch_vccz .LBB2_336
; %bb.331:                              ;   in Loop: Header=BB2_246 Depth=2
	v_mov_b32_e32 v17, v115
	s_and_saveexec_b32 s30, vcc_hi
	s_cbranch_execz .LBB2_335
; %bb.332:                              ;   in Loop: Header=BB2_246 Depth=2
	v_mov_b32_e32 v17, v113
	s_or_b32 s14, s12, s13
	s_delay_alu instid0(SALU_CYCLE_1)
	s_and_saveexec_b32 s31, s14
; %bb.333:                              ;   in Loop: Header=BB2_246 Depth=2
	v_lshrrev_b32_e32 v17, 16, v13
	v_cmp_lt_u16_e32 vcc_lo, 0x7c00, v114
	s_delay_alu instid0(VALU_DEP_2) | instskip(NEXT) | instid1(VALU_DEP_1)
	v_cmp_gt_f16_e64 s14, v13, v17
	v_cndmask_b32_e64 v17, v17, v13, s14
	s_and_b32 s14, s12, vcc_lo
	s_delay_alu instid0(VALU_DEP_1) | instid1(SALU_CYCLE_1)
	v_cndmask_b32_e64 v17, v17, 0x7fff, s14
; %bb.334:                              ;   in Loop: Header=BB2_246 Depth=2
	s_or_b32 exec_lo, exec_lo, s31
.LBB2_335:                              ;   in Loop: Header=BB2_246 Depth=2
	s_delay_alu instid0(SALU_CYCLE_1)
	s_or_b32 exec_lo, exec_lo, s30
	s_mov_b32 s14, 0
.LBB2_336:                              ;   in Loop: Header=BB2_246 Depth=2
	s_delay_alu instid0(SALU_CYCLE_1)
	s_and_not1_b32 vcc_lo, exec_lo, s14
	s_cbranch_vccnz .LBB2_245
; %bb.337:                              ;   in Loop: Header=BB2_246 Depth=2
	s_and_saveexec_b32 s14, vcc_hi
	s_cbranch_execz .LBB2_244
; %bb.338:                              ;   in Loop: Header=BB2_246 Depth=2
	s_or_b32 s13, s12, s13
	s_delay_alu instid0(SALU_CYCLE_1)
	s_and_saveexec_b32 vcc_hi, s13
	s_cbranch_execz .LBB2_243
; %bb.339:                              ;   in Loop: Header=BB2_246 Depth=2
	v_lshrrev_b32_e32 v17, 16, v13
	v_cmp_lt_u16_e32 vcc_lo, 0x7c00, v114
	s_delay_alu instid0(VALU_DEP_2) | instskip(SKIP_1) | instid1(VALU_DEP_1)
	v_cmp_gt_f16_e64 s13, v13, v17
	s_and_b32 s12, s12, vcc_lo
	v_cndmask_b32_e64 v13, v13, v17, s13
	s_delay_alu instid0(VALU_DEP_1)
	v_cndmask_b32_e64 v113, v13, 0x7fff, s12
	s_branch .LBB2_243
.LBB2_340:                              ;   in Loop: Header=BB2_53 Depth=1
	s_or_b32 exec_lo, exec_lo, s28
.LBB2_341:                              ;   in Loop: Header=BB2_53 Depth=1
	s_delay_alu instid0(SALU_CYCLE_1) | instskip(SKIP_2) | instid1(VALU_DEP_2)
	s_or_b32 exec_lo, exec_lo, s27
	v_and_b32_e32 v10, 14, v99
	v_cmp_lt_i32_e32 vcc_lo, 0, v100
	v_sub_nc_u32_e32 v11, v97, v10
	v_cndmask_b32_e32 v12, 0, v66, vcc_lo
	v_cndmask_b32_e64 v97, v97, v10, s11
	s_delay_alu instid0(VALU_DEP_3) | instskip(NEXT) | instid1(VALU_DEP_3)
	v_cndmask_b32_e64 v10, 0, v11, s11
	v_sub_nc_u32_e32 v11, v12, v100
	s_delay_alu instid0(VALU_DEP_3) | instskip(NEXT) | instid1(VALU_DEP_3)
	v_cmp_ne_u32_e32 vcc_lo, 0, v97
	v_add3_u32 v16, v102, v98, v10
	s_delay_alu instid0(VALU_DEP_3)
	v_lshl_add_u32 v17, v11, 5, v101
	s_and_b32 s12, vcc_lo, exec_lo
.LBB2_342:                              ;   in Loop: Header=BB2_53 Depth=1
	s_or_b32 exec_lo, exec_lo, s26
.LBB2_343:                              ;   in Loop: Header=BB2_53 Depth=1
	s_and_saveexec_b32 s14, s12
	s_cbranch_execz .LBB2_414
; %bb.344:                              ;   in Loop: Header=BB2_53 Depth=1
	s_delay_alu instid0(VALU_DEP_1) | instskip(SKIP_2) | instid1(VALU_DEP_2)
	v_ashrrev_i32_e32 v10, 31, v17
	v_ashrrev_i32_e32 v11, 31, v97
	s_mov_b32 s26, exec_lo
	v_lshrrev_b32_e32 v10, 27, v10
	s_delay_alu instid0(VALU_DEP_2) | instskip(NEXT) | instid1(VALU_DEP_2)
	v_lshrrev_b32_e32 v11, 24, v11
	v_add_nc_u32_e32 v10, v17, v10
	s_delay_alu instid0(VALU_DEP_2) | instskip(NEXT) | instid1(VALU_DEP_2)
	v_add_nc_u32_e32 v11, v97, v11
	v_ashrrev_i32_e32 v50, 5, v10
	s_delay_alu instid0(VALU_DEP_2) | instskip(NEXT) | instid1(VALU_DEP_1)
	v_ashrrev_i32_e32 v52, 8, v11
	v_sub_nc_u32_e32 v51, v52, v50
	s_delay_alu instid0(VALU_DEP_1)
	v_cmpx_lt_i32_e32 0, v51
	s_cbranch_execz .LBB2_397
; %bb.345:                              ;   in Loop: Header=BB2_53 Depth=1
	s_cbranch_execnz .LBB2_1390
; %bb.346:                              ;   in Loop: Header=BB2_53 Depth=1
	v_and_b32_e32 v14, 0x7fffffe0, v10
	ds_load_b128 v[10:13], v0
	v_lshlrev_b32_e32 v53, 8, v50
	s_bitcmp1_b32 s25, 0
	s_mov_b32 s27, 0
	v_sub_nc_u32_e32 v14, v17, v14
	s_cselect_b32 s28, -1, 0
	s_delay_alu instid0(VALU_DEP_1) | instskip(SKIP_2) | instid1(VALU_DEP_1)
	v_lshlrev_b32_e32 v54, 1, v14
	ds_load_b64 v[14:15], v0
	v_add3_u32 v53, v54, v16, v53
	v_ashrrev_i32_e32 v54, 31, v53
	s_waitcnt lgkmcnt(1)
	v_add_co_u32 v10, vcc_lo, v10, v53
	s_delay_alu instid0(VALU_DEP_2)
	v_add_co_ci_u32_e32 v11, vcc_lo, v11, v54, vcc_lo
	v_add_co_u32 v12, vcc_lo, v12, v53
	v_add_co_ci_u32_e32 v13, vcc_lo, v13, v54, vcc_lo
	s_waitcnt lgkmcnt(0)
	v_add_co_u32 v14, vcc_lo, v14, v53
	v_add_co_ci_u32_e32 v15, vcc_lo, v15, v54, vcc_lo
	s_branch .LBB2_350
.LBB2_347:                              ;   in Loop: Header=BB2_350 Depth=2
	s_or_b32 exec_lo, exec_lo, s29
	s_delay_alu instid0(VALU_DEP_1)
	v_mov_b32_e32 v54, v53
.LBB2_348:                              ;   in Loop: Header=BB2_350 Depth=2
	s_or_b32 exec_lo, exec_lo, s13
	s_delay_alu instid0(VALU_DEP_1)
	v_mov_b32_e32 v99, v54
.LBB2_349:                              ;   in Loop: Header=BB2_350 Depth=2
	v_add_co_u32 v10, vcc_lo, v10, v83
	v_sub_nc_u32_e32 v51, v51, v66
	v_add_co_ci_u32_e32 v11, vcc_lo, v11, v84, vcc_lo
	v_add_co_u32 v12, vcc_lo, v12, v83
	v_add_co_ci_u32_e32 v13, vcc_lo, v13, v84, vcc_lo
	s_clause 0x3
	flat_store_b16 v[14:15], v55 glc slc dlc
	flat_store_b16 v[14:15], v100 offset:64 glc slc dlc
	flat_store_b16 v[14:15], v101 offset:128 glc slc dlc
	;; [unrolled: 1-line block ×3, first 2 shown]
	v_cmp_gt_i32_e32 vcc_lo, 1, v51
	v_add_co_u32 v14, s11, v14, v83
	s_delay_alu instid0(VALU_DEP_1) | instskip(SKIP_1) | instid1(SALU_CYCLE_1)
	v_add_co_ci_u32_e64 v15, s11, v15, v84, s11
	s_or_b32 s27, vcc_lo, s27
	s_and_not1_b32 exec_lo, exec_lo, s27
	s_cbranch_execz .LBB2_396
.LBB2_350:                              ;   Parent Loop BB2_53 Depth=1
                                        ; =>  This Inner Loop Header: Depth=2
	flat_load_u16 v100, v[10:11] slc dlc
	flat_load_u16 v103, v[12:13] slc dlc
	s_clause 0x2
	flat_load_u16 v101, v[10:11] offset:64 slc dlc
	flat_load_u16 v98, v[10:11] offset:128 slc dlc
	;; [unrolled: 1-line block ×3, first 2 shown]
	s_clause 0x2
	flat_load_u16 v102, v[12:13] offset:64 slc dlc
	flat_load_u16 v99, v[12:13] offset:128 slc dlc
	flat_load_u16 v54, v[12:13] offset:192 slc dlc
	s_mov_b32 s13, -1
	s_and_b32 vcc_lo, exec_lo, s28
	s_waitcnt vmcnt(7) lgkmcnt(7)
	v_and_b32_e32 v55, 0x7fff, v100
	s_waitcnt vmcnt(6) lgkmcnt(6)
	v_and_b32_e32 v112, 0x7fff, v103
	s_delay_alu instid0(VALU_DEP_2) | instskip(NEXT) | instid1(VALU_DEP_2)
	v_cmp_lt_u16_e64 s11, 0x7c00, v55
	v_cmp_gt_u16_e64 s12, 0x7c01, v112
                                        ; implicit-def: $vgpr55
	s_delay_alu instid0(VALU_DEP_1) | instskip(NEXT) | instid1(SALU_CYCLE_1)
	s_and_b32 s29, s11, s12
	s_xor_b32 s29, s29, -1
	s_cbranch_vccz .LBB2_356
; %bb.351:                              ;   in Loop: Header=BB2_350 Depth=2
	v_mov_b32_e32 v55, v103
	s_and_saveexec_b32 vcc_hi, s29
	s_cbranch_execz .LBB2_355
; %bb.352:                              ;   in Loop: Header=BB2_350 Depth=2
	v_mov_b32_e32 v55, v100
	s_or_b32 s13, s11, s12
	s_delay_alu instid0(SALU_CYCLE_1)
	s_and_saveexec_b32 s30, s13
; %bb.353:                              ;   in Loop: Header=BB2_350 Depth=2
	v_cmp_gt_f16_e64 s13, v100, v103
	v_cmp_lt_u16_e32 vcc_lo, 0x7c00, v112
	s_delay_alu instid0(VALU_DEP_2)
	v_cndmask_b32_e64 v55, v103, v100, s13
	s_and_b32 s13, s11, vcc_lo
	s_delay_alu instid0(VALU_DEP_1) | instid1(SALU_CYCLE_1)
	v_cndmask_b32_e64 v55, v55, 0x7fff, s13
; %bb.354:                              ;   in Loop: Header=BB2_350 Depth=2
	s_or_b32 exec_lo, exec_lo, s30
.LBB2_355:                              ;   in Loop: Header=BB2_350 Depth=2
	s_delay_alu instid0(SALU_CYCLE_1)
	s_or_b32 exec_lo, exec_lo, vcc_hi
	s_mov_b32 s13, 0
.LBB2_356:                              ;   in Loop: Header=BB2_350 Depth=2
	s_delay_alu instid0(SALU_CYCLE_1)
	s_and_not1_b32 vcc_lo, exec_lo, s13
	s_cbranch_vccnz .LBB2_362
; %bb.357:                              ;   in Loop: Header=BB2_350 Depth=2
	s_and_saveexec_b32 s13, s29
	s_cbranch_execz .LBB2_361
; %bb.358:                              ;   in Loop: Header=BB2_350 Depth=2
	s_or_b32 s12, s11, s12
	s_delay_alu instid0(SALU_CYCLE_1)
	s_and_saveexec_b32 s29, s12
; %bb.359:                              ;   in Loop: Header=BB2_350 Depth=2
	v_cmp_gt_f16_e64 s12, v100, v103
	v_cmp_lt_u16_e32 vcc_lo, 0x7c00, v112
	s_delay_alu instid0(VALU_DEP_2)
	v_cndmask_b32_e64 v55, v100, v103, s12
	s_and_b32 s11, s11, vcc_lo
	s_delay_alu instid0(VALU_DEP_1) | instid1(SALU_CYCLE_1)
	v_cndmask_b32_e64 v100, v55, 0x7fff, s11
; %bb.360:                              ;   in Loop: Header=BB2_350 Depth=2
	s_or_b32 exec_lo, exec_lo, s29
	s_delay_alu instid0(VALU_DEP_1)
	v_mov_b32_e32 v103, v100
.LBB2_361:                              ;   in Loop: Header=BB2_350 Depth=2
	s_or_b32 exec_lo, exec_lo, s13
	s_delay_alu instid0(VALU_DEP_1)
	v_mov_b32_e32 v55, v103
.LBB2_362:                              ;   in Loop: Header=BB2_350 Depth=2
	s_waitcnt vmcnt(5) lgkmcnt(5)
	v_and_b32_e32 v100, 0x7fff, v101
	s_waitcnt vmcnt(2) lgkmcnt(2)
	v_and_b32_e32 v103, 0x7fff, v102
	s_mov_b32 s13, -1
	s_and_not1_b32 vcc_lo, exec_lo, s28
	v_cmp_lt_u16_e64 s11, 0x7c00, v100
	s_delay_alu instid0(VALU_DEP_2) | instskip(NEXT) | instid1(VALU_DEP_1)
	v_cmp_gt_u16_e64 s12, 0x7c01, v103
                                        ; implicit-def: $vgpr100
	s_and_b32 s29, s11, s12
	s_delay_alu instid0(SALU_CYCLE_1)
	s_xor_b32 s29, s29, -1
	s_cbranch_vccnz .LBB2_368
; %bb.363:                              ;   in Loop: Header=BB2_350 Depth=2
	v_mov_b32_e32 v100, v102
	s_and_saveexec_b32 vcc_hi, s29
	s_cbranch_execz .LBB2_367
; %bb.364:                              ;   in Loop: Header=BB2_350 Depth=2
	v_mov_b32_e32 v100, v101
	s_or_b32 s13, s11, s12
	s_delay_alu instid0(SALU_CYCLE_1)
	s_and_saveexec_b32 s30, s13
; %bb.365:                              ;   in Loop: Header=BB2_350 Depth=2
	v_cmp_gt_f16_e64 s13, v101, v102
	v_cmp_lt_u16_e32 vcc_lo, 0x7c00, v103
	s_delay_alu instid0(VALU_DEP_2)
	v_cndmask_b32_e64 v100, v102, v101, s13
	s_and_b32 s13, s11, vcc_lo
	s_delay_alu instid0(VALU_DEP_1) | instid1(SALU_CYCLE_1)
	v_cndmask_b32_e64 v100, v100, 0x7fff, s13
; %bb.366:                              ;   in Loop: Header=BB2_350 Depth=2
	s_or_b32 exec_lo, exec_lo, s30
.LBB2_367:                              ;   in Loop: Header=BB2_350 Depth=2
	s_delay_alu instid0(SALU_CYCLE_1)
	s_or_b32 exec_lo, exec_lo, vcc_hi
	s_mov_b32 s13, 0
.LBB2_368:                              ;   in Loop: Header=BB2_350 Depth=2
	s_delay_alu instid0(SALU_CYCLE_1)
	s_and_not1_b32 vcc_lo, exec_lo, s13
	s_cbranch_vccnz .LBB2_374
; %bb.369:                              ;   in Loop: Header=BB2_350 Depth=2
	s_and_saveexec_b32 s13, s29
	s_cbranch_execz .LBB2_373
; %bb.370:                              ;   in Loop: Header=BB2_350 Depth=2
	s_or_b32 s12, s11, s12
	s_delay_alu instid0(SALU_CYCLE_1)
	s_and_saveexec_b32 s29, s12
; %bb.371:                              ;   in Loop: Header=BB2_350 Depth=2
	v_cmp_gt_f16_e64 s12, v101, v102
	v_cmp_lt_u16_e32 vcc_lo, 0x7c00, v103
	s_delay_alu instid0(VALU_DEP_2)
	v_cndmask_b32_e64 v100, v101, v102, s12
	s_and_b32 s11, s11, vcc_lo
	s_delay_alu instid0(VALU_DEP_1) | instid1(SALU_CYCLE_1)
	v_cndmask_b32_e64 v101, v100, 0x7fff, s11
; %bb.372:                              ;   in Loop: Header=BB2_350 Depth=2
	s_or_b32 exec_lo, exec_lo, s29
	s_delay_alu instid0(VALU_DEP_1)
	v_mov_b32_e32 v102, v101
.LBB2_373:                              ;   in Loop: Header=BB2_350 Depth=2
	s_or_b32 exec_lo, exec_lo, s13
	s_delay_alu instid0(VALU_DEP_1)
	v_mov_b32_e32 v100, v102
.LBB2_374:                              ;   in Loop: Header=BB2_350 Depth=2
	v_and_b32_e32 v101, 0x7fff, v98
	s_waitcnt vmcnt(1) lgkmcnt(1)
	v_and_b32_e32 v102, 0x7fff, v99
	s_mov_b32 s13, -1
	s_and_not1_b32 vcc_lo, exec_lo, s28
	v_cmp_lt_u16_e64 s11, 0x7c00, v101
	s_delay_alu instid0(VALU_DEP_2) | instskip(NEXT) | instid1(VALU_DEP_1)
	v_cmp_gt_u16_e64 s12, 0x7c01, v102
                                        ; implicit-def: $vgpr101
	s_and_b32 s29, s11, s12
	s_delay_alu instid0(SALU_CYCLE_1)
	s_xor_b32 s29, s29, -1
	s_cbranch_vccnz .LBB2_380
; %bb.375:                              ;   in Loop: Header=BB2_350 Depth=2
	v_mov_b32_e32 v101, v99
	s_and_saveexec_b32 vcc_hi, s29
	s_cbranch_execz .LBB2_379
; %bb.376:                              ;   in Loop: Header=BB2_350 Depth=2
	v_mov_b32_e32 v101, v98
	s_or_b32 s13, s11, s12
	s_delay_alu instid0(SALU_CYCLE_1)
	s_and_saveexec_b32 s30, s13
; %bb.377:                              ;   in Loop: Header=BB2_350 Depth=2
	v_cmp_gt_f16_e64 s13, v98, v99
	v_cmp_lt_u16_e32 vcc_lo, 0x7c00, v102
	s_delay_alu instid0(VALU_DEP_2)
	v_cndmask_b32_e64 v101, v99, v98, s13
	s_and_b32 s13, s11, vcc_lo
	s_delay_alu instid0(VALU_DEP_1) | instid1(SALU_CYCLE_1)
	v_cndmask_b32_e64 v101, v101, 0x7fff, s13
; %bb.378:                              ;   in Loop: Header=BB2_350 Depth=2
	s_or_b32 exec_lo, exec_lo, s30
.LBB2_379:                              ;   in Loop: Header=BB2_350 Depth=2
	s_delay_alu instid0(SALU_CYCLE_1)
	s_or_b32 exec_lo, exec_lo, vcc_hi
	s_mov_b32 s13, 0
.LBB2_380:                              ;   in Loop: Header=BB2_350 Depth=2
	s_delay_alu instid0(SALU_CYCLE_1)
	s_and_not1_b32 vcc_lo, exec_lo, s13
	s_cbranch_vccnz .LBB2_386
; %bb.381:                              ;   in Loop: Header=BB2_350 Depth=2
	s_and_saveexec_b32 s13, s29
	s_cbranch_execz .LBB2_385
; %bb.382:                              ;   in Loop: Header=BB2_350 Depth=2
	s_or_b32 s12, s11, s12
	s_delay_alu instid0(SALU_CYCLE_1)
	s_and_saveexec_b32 s29, s12
; %bb.383:                              ;   in Loop: Header=BB2_350 Depth=2
	v_cmp_gt_f16_e64 s12, v98, v99
	v_cmp_lt_u16_e32 vcc_lo, 0x7c00, v102
	s_delay_alu instid0(VALU_DEP_2)
	v_cndmask_b32_e64 v98, v98, v99, s12
	s_and_b32 s11, s11, vcc_lo
	s_delay_alu instid0(VALU_DEP_1) | instid1(SALU_CYCLE_1)
	v_cndmask_b32_e64 v98, v98, 0x7fff, s11
; %bb.384:                              ;   in Loop: Header=BB2_350 Depth=2
	s_or_b32 exec_lo, exec_lo, s29
	s_delay_alu instid0(VALU_DEP_1)
	v_mov_b32_e32 v99, v98
.LBB2_385:                              ;   in Loop: Header=BB2_350 Depth=2
	s_or_b32 exec_lo, exec_lo, s13
	s_delay_alu instid0(VALU_DEP_1)
	v_mov_b32_e32 v101, v99
.LBB2_386:                              ;   in Loop: Header=BB2_350 Depth=2
	v_and_b32_e32 v99, 0x7fff, v53
	s_waitcnt vmcnt(0) lgkmcnt(0)
	v_and_b32_e32 v98, 0x7fff, v54
	s_mov_b32 s13, -1
	s_and_not1_b32 vcc_lo, exec_lo, s28
	v_cmp_lt_u16_e64 s11, 0x7c00, v99
	s_delay_alu instid0(VALU_DEP_2) | instskip(NEXT) | instid1(VALU_DEP_1)
	v_cmp_gt_u16_e64 s12, 0x7c01, v98
                                        ; implicit-def: $vgpr99
	s_and_b32 s29, s11, s12
	s_delay_alu instid0(SALU_CYCLE_1)
	s_xor_b32 s29, s29, -1
	s_cbranch_vccnz .LBB2_392
; %bb.387:                              ;   in Loop: Header=BB2_350 Depth=2
	v_mov_b32_e32 v99, v54
	s_and_saveexec_b32 vcc_hi, s29
	s_cbranch_execz .LBB2_391
; %bb.388:                              ;   in Loop: Header=BB2_350 Depth=2
	v_mov_b32_e32 v99, v53
	s_or_b32 s13, s11, s12
	s_delay_alu instid0(SALU_CYCLE_1)
	s_and_saveexec_b32 s30, s13
; %bb.389:                              ;   in Loop: Header=BB2_350 Depth=2
	v_cmp_gt_f16_e64 s13, v53, v54
	v_cmp_lt_u16_e32 vcc_lo, 0x7c00, v98
	s_delay_alu instid0(VALU_DEP_2)
	v_cndmask_b32_e64 v99, v54, v53, s13
	s_and_b32 s13, s11, vcc_lo
	s_delay_alu instid0(VALU_DEP_1) | instid1(SALU_CYCLE_1)
	v_cndmask_b32_e64 v99, v99, 0x7fff, s13
; %bb.390:                              ;   in Loop: Header=BB2_350 Depth=2
	s_or_b32 exec_lo, exec_lo, s30
.LBB2_391:                              ;   in Loop: Header=BB2_350 Depth=2
	s_delay_alu instid0(SALU_CYCLE_1)
	s_or_b32 exec_lo, exec_lo, vcc_hi
	s_mov_b32 s13, 0
.LBB2_392:                              ;   in Loop: Header=BB2_350 Depth=2
	s_delay_alu instid0(SALU_CYCLE_1)
	s_and_not1_b32 vcc_lo, exec_lo, s13
	s_cbranch_vccnz .LBB2_349
; %bb.393:                              ;   in Loop: Header=BB2_350 Depth=2
	s_and_saveexec_b32 s13, s29
	s_cbranch_execz .LBB2_348
; %bb.394:                              ;   in Loop: Header=BB2_350 Depth=2
	s_or_b32 s12, s11, s12
	s_delay_alu instid0(SALU_CYCLE_1)
	s_and_saveexec_b32 s29, s12
	s_cbranch_execz .LBB2_347
; %bb.395:                              ;   in Loop: Header=BB2_350 Depth=2
	v_cmp_gt_f16_e64 s12, v53, v54
	v_cmp_lt_u16_e32 vcc_lo, 0x7c00, v98
	s_delay_alu instid0(VALU_DEP_2)
	v_cndmask_b32_e64 v53, v53, v54, s12
	s_and_b32 s11, s11, vcc_lo
	s_delay_alu instid0(VALU_DEP_1) | instid1(SALU_CYCLE_1)
	v_cndmask_b32_e64 v53, v53, 0x7fff, s11
	s_branch .LBB2_347
.LBB2_396:                              ;   in Loop: Header=BB2_53 Depth=1
	s_or_b32 exec_lo, exec_lo, s27
.LBB2_397:                              ;   in Loop: Header=BB2_53 Depth=1
	s_delay_alu instid0(SALU_CYCLE_1) | instskip(SKIP_1) | instid1(VALU_DEP_1)
	s_or_b32 exec_lo, exec_lo, s26
	v_lshlrev_b32_e32 v10, 8, v52
	v_cmp_ne_u32_e32 vcc_lo, v97, v10
	s_and_b32 exec_lo, exec_lo, vcc_lo
	s_cbranch_execz .LBB2_414
; %bb.398:                              ;   in Loop: Header=BB2_53 Depth=1
	v_lshlrev_b32_e32 v11, 5, v50
	v_lshlrev_b32_e32 v12, 5, v51
	s_delay_alu instid0(VALU_DEP_2) | instskip(NEXT) | instid1(VALU_DEP_1)
	v_sub_nc_u32_e32 v11, v17, v11
	v_sub_nc_u32_e32 v11, v11, v12
	s_delay_alu instid0(VALU_DEP_1) | instskip(NEXT) | instid1(VALU_DEP_1)
	v_ashrrev_i32_e32 v12, 31, v11
	v_lshrrev_b32_e32 v12, 27, v12
	s_delay_alu instid0(VALU_DEP_1) | instskip(NEXT) | instid1(VALU_DEP_1)
	v_add_nc_u32_e32 v12, v11, v12
	v_and_b32_e32 v13, 0x7fffffe0, v12
	v_lshlrev_b32_e32 v12, 1, v12
	s_delay_alu instid0(VALU_DEP_2) | instskip(NEXT) | instid1(VALU_DEP_2)
	v_sub_nc_u32_e32 v11, v11, v13
	v_and_b32_e32 v12, 0xffffffc0, v12
	s_delay_alu instid0(VALU_DEP_2) | instskip(NEXT) | instid1(VALU_DEP_1)
	v_lshlrev_b32_e32 v11, 1, v11
	v_add3_u32 v10, v12, v11, v10
	s_delay_alu instid0(VALU_DEP_1) | instskip(NEXT) | instid1(VALU_DEP_1)
	v_sub_nc_u32_e32 v17, v97, v10
	v_cmp_lt_i32_e32 vcc_lo, 1, v17
	s_and_b32 exec_lo, exec_lo, vcc_lo
	s_cbranch_execz .LBB2_414
; %bb.399:                              ;   in Loop: Header=BB2_53 Depth=1
	s_cbranch_execnz .LBB2_1410
; %bb.400:                              ;   in Loop: Header=BB2_53 Depth=1
	ds_load_b128 v[11:14], v0
	ds_load_b64 v[50:51], v0
	v_add_nc_u32_e32 v15, v10, v16
	s_bitcmp1_b32 s25, 0
	s_mov_b32 s25, 0
	s_cselect_b32 s26, -1, 0
	s_delay_alu instid0(VALU_DEP_1) | instskip(SKIP_2) | instid1(VALU_DEP_2)
	v_ashrrev_i32_e32 v16, 31, v15
	s_waitcnt lgkmcnt(1)
	v_add_co_u32 v10, vcc_lo, v11, v15
	v_add_co_ci_u32_e32 v11, vcc_lo, v12, v16, vcc_lo
	v_add_co_u32 v12, vcc_lo, v13, v15
	v_add_co_ci_u32_e32 v13, vcc_lo, v14, v16, vcc_lo
	s_waitcnt lgkmcnt(0)
	v_add_co_u32 v14, vcc_lo, v50, v15
	v_add_co_ci_u32_e32 v15, vcc_lo, v51, v16, vcc_lo
	s_branch .LBB2_404
.LBB2_401:                              ;   in Loop: Header=BB2_404 Depth=2
	s_or_b32 exec_lo, exec_lo, s27
	s_delay_alu instid0(VALU_DEP_1)
	v_mov_b32_e32 v50, v16
.LBB2_402:                              ;   in Loop: Header=BB2_404 Depth=2
	s_or_b32 exec_lo, exec_lo, s13
	s_delay_alu instid0(VALU_DEP_1)
	v_mov_b32_e32 v52, v50
.LBB2_403:                              ;   in Loop: Header=BB2_404 Depth=2
	v_add_co_u32 v10, vcc_lo, v10, v85
	v_sub_nc_u32_e32 v17, v17, v71
	v_add_co_ci_u32_e32 v11, vcc_lo, v11, v86, vcc_lo
	v_add_co_u32 v12, vcc_lo, v12, v85
	v_add_co_ci_u32_e32 v13, vcc_lo, v13, v86, vcc_lo
	flat_store_b16 v[14:15], v52 glc slc dlc
	v_cmp_gt_i32_e32 vcc_lo, 2, v17
	v_add_co_u32 v14, s11, v14, v85
	s_delay_alu instid0(VALU_DEP_1) | instskip(SKIP_1) | instid1(SALU_CYCLE_1)
	v_add_co_ci_u32_e64 v15, s11, v15, v86, s11
	s_or_b32 s25, vcc_lo, s25
	s_and_not1_b32 exec_lo, exec_lo, s25
	s_cbranch_execz .LBB2_414
.LBB2_404:                              ;   Parent Loop BB2_53 Depth=1
                                        ; =>  This Inner Loop Header: Depth=2
	flat_load_u16 v16, v[10:11] slc dlc
	flat_load_u16 v50, v[12:13] slc dlc
	s_mov_b32 s13, -1
	s_and_b32 vcc_lo, exec_lo, s26
	s_waitcnt vmcnt(1) lgkmcnt(1)
	v_and_b32_e32 v52, 0x7fff, v16
	s_waitcnt vmcnt(0) lgkmcnt(0)
	v_and_b32_e32 v51, 0x7fff, v50
	s_delay_alu instid0(VALU_DEP_2) | instskip(NEXT) | instid1(VALU_DEP_2)
	v_cmp_lt_u16_e64 s11, 0x7c00, v52
	v_cmp_gt_u16_e64 s12, 0x7c01, v51
                                        ; implicit-def: $vgpr52
	s_delay_alu instid0(VALU_DEP_1) | instskip(NEXT) | instid1(SALU_CYCLE_1)
	s_and_b32 s27, s11, s12
	s_xor_b32 s27, s27, -1
	s_cbranch_vccz .LBB2_410
; %bb.405:                              ;   in Loop: Header=BB2_404 Depth=2
	v_mov_b32_e32 v52, v50
	s_and_saveexec_b32 s28, s27
	s_cbranch_execz .LBB2_409
; %bb.406:                              ;   in Loop: Header=BB2_404 Depth=2
	v_mov_b32_e32 v52, v16
	s_or_b32 s13, s11, s12
	s_delay_alu instid0(SALU_CYCLE_1)
	s_and_saveexec_b32 s29, s13
; %bb.407:                              ;   in Loop: Header=BB2_404 Depth=2
	v_cmp_gt_f16_e64 s13, v16, v50
	v_cmp_lt_u16_e32 vcc_lo, 0x7c00, v51
	s_delay_alu instid0(VALU_DEP_2)
	v_cndmask_b32_e64 v52, v50, v16, s13
	s_and_b32 s13, s11, vcc_lo
	s_delay_alu instid0(VALU_DEP_1) | instid1(SALU_CYCLE_1)
	v_cndmask_b32_e64 v52, v52, 0x7fff, s13
; %bb.408:                              ;   in Loop: Header=BB2_404 Depth=2
	s_or_b32 exec_lo, exec_lo, s29
.LBB2_409:                              ;   in Loop: Header=BB2_404 Depth=2
	s_delay_alu instid0(SALU_CYCLE_1)
	s_or_b32 exec_lo, exec_lo, s28
	s_mov_b32 s13, 0
.LBB2_410:                              ;   in Loop: Header=BB2_404 Depth=2
	s_delay_alu instid0(SALU_CYCLE_1)
	s_and_not1_b32 vcc_lo, exec_lo, s13
	s_cbranch_vccnz .LBB2_403
; %bb.411:                              ;   in Loop: Header=BB2_404 Depth=2
	s_and_saveexec_b32 s13, s27
	s_cbranch_execz .LBB2_402
; %bb.412:                              ;   in Loop: Header=BB2_404 Depth=2
	s_or_b32 s12, s11, s12
	s_delay_alu instid0(SALU_CYCLE_1)
	s_and_saveexec_b32 s27, s12
	s_cbranch_execz .LBB2_401
; %bb.413:                              ;   in Loop: Header=BB2_404 Depth=2
	v_cmp_gt_f16_e64 s12, v16, v50
	v_cmp_lt_u16_e32 vcc_lo, 0x7c00, v51
	s_delay_alu instid0(VALU_DEP_2)
	v_cndmask_b32_e64 v16, v16, v50, s12
	s_and_b32 s11, s11, vcc_lo
	s_delay_alu instid0(VALU_DEP_1) | instid1(SALU_CYCLE_1)
	v_cndmask_b32_e64 v16, v16, 0x7fff, s11
	s_branch .LBB2_401
.LBB2_414:                              ;   in Loop: Header=BB2_53 Depth=1
	s_or_b32 exec_lo, exec_lo, s14
	v_cmp_ne_u32_e64 s11, 0, v35
.LBB2_415:                              ;   in Loop: Header=BB2_53 Depth=1
	s_and_saveexec_b32 s12, s3
	s_cbranch_execz .LBB2_437
; %bb.416:                              ;   in Loop: Header=BB2_53 Depth=1
	s_and_saveexec_b32 s13, s4
	s_delay_alu instid0(SALU_CYCLE_1)
	s_xor_b32 s13, exec_lo, s13
	s_cbranch_execz .LBB2_434
; %bb.417:                              ;   in Loop: Header=BB2_53 Depth=1
	s_and_saveexec_b32 s14, s5
	s_cbranch_execz .LBB2_433
; %bb.418:                              ;   in Loop: Header=BB2_53 Depth=1
	s_mov_b32 s26, exec_lo
	s_mov_b32 s25, exec_lo
	v_mbcnt_lo_u32_b32 v10, s26, 0
	s_waitcnt lgkmcnt(0)
	s_waitcnt_vscnt null, 0x0
	buffer_gl1_inv
	buffer_gl0_inv
	v_cmpx_eq_u32_e32 0, v10
	s_cbranch_execz .LBB2_420
; %bb.419:                              ;   in Loop: Header=BB2_53 Depth=1
	s_bcnt1_i32_b32 s26, s26
	s_delay_alu instid0(SALU_CYCLE_1)
	v_mov_b32_e32 v35, s26
	ds_add_u64 v0, v[35:36]
	s_cbranch_execnz .LBB2_1404
.LBB2_420:                              ;   in Loop: Header=BB2_53 Depth=1
	s_or_b32 exec_lo, exec_lo, s25
	s_cbranch_execnz .LBB2_1382
; %bb.421:                              ;   in Loop: Header=BB2_53 Depth=1
	ds_load_b64 v[10:11], v0
	v_add_co_u32 v26, vcc_lo, v26, v66
	v_add_co_ci_u32_e32 v27, vcc_lo, 0, v27, vcc_lo
	s_mov_b32 s25, exec_lo
	s_waitcnt lgkmcnt(0)
	s_delay_alu instid0(VALU_DEP_1)
	v_cmpx_lt_u64_e64 v[10:11], v[26:27]
	s_cbranch_execz .LBB2_432
; %bb.422:                              ;   in Loop: Header=BB2_53 Depth=1
	s_mov_b32 s26, 0
	s_mov_b32 s29, 0
                                        ; implicit-def: $sgpr27
                                        ; implicit-def: $sgpr28
	s_branch .LBB2_424
.LBB2_423:                              ;   in Loop: Header=BB2_424 Depth=2
	s_or_b32 exec_lo, exec_lo, s30
	s_delay_alu instid0(SALU_CYCLE_1) | instskip(NEXT) | instid1(SALU_CYCLE_1)
	s_and_b32 vcc_lo, exec_lo, vcc_lo
	s_or_b32 s26, vcc_lo, s26
	s_and_not1_b32 s27, s27, exec_lo
	s_and_b32 vcc_lo, s28, exec_lo
	s_delay_alu instid0(SALU_CYCLE_1)
	s_or_b32 s27, s27, vcc_lo
	s_and_not1_b32 exec_lo, exec_lo, s26
	s_cbranch_execz .LBB2_430
.LBB2_424:                              ;   Parent Loop BB2_53 Depth=1
                                        ; =>  This Inner Loop Header: Depth=2
	s_add_i32 s29, s29, 1
                                        ; implicit-def: $sgpr30
	s_delay_alu instid0(SALU_CYCLE_1) | instskip(SKIP_1) | instid1(SALU_CYCLE_1)
	s_cmpk_lg_i32 s29, 0x2710
	s_cselect_b32 vcc_hi, -1, 0
	s_and_b32 vcc_lo, exec_lo, vcc_hi
	s_cbranch_vccz .LBB2_428
.LBB2_425:                              ;   in Loop: Header=BB2_424 Depth=2
	s_and_not1_b32 s28, s28, exec_lo
	s_and_b32 s30, s30, exec_lo
	s_mov_b32 vcc_lo, -1
	s_or_b32 s28, s28, s30
	s_and_saveexec_b32 s30, vcc_hi
	s_cbranch_execz .LBB2_423
; %bb.426:                              ;   in Loop: Header=BB2_424 Depth=2
	s_sleep 1
	s_cbranch_execnz .LBB2_1420
; %bb.427:                              ;   in Loop: Header=BB2_424 Depth=2
	ds_load_b64 v[10:11], v0
	s_and_not1_b32 s28, s28, exec_lo
	s_waitcnt lgkmcnt(0)
	v_cmp_ge_u64_e32 vcc_lo, v[10:11], v[26:27]
	s_or_not1_b32 vcc_lo, vcc_lo, exec_lo
	s_branch .LBB2_423
.LBB2_428:                              ;   in Loop: Header=BB2_424 Depth=2
	s_cbranch_execnz .LBB2_1424
; %bb.429:                              ;   in Loop: Header=BB2_424 Depth=2
	ds_load_b64 v[10:11], v0
	s_mov_b32 s29, 0
	s_mov_b32 s30, -1
	s_waitcnt lgkmcnt(0)
	flat_load_b32 v10, v[10:11] glc
	s_waitcnt vmcnt(0) lgkmcnt(0)
	buffer_gl1_inv
	buffer_gl0_inv
	v_cmp_eq_u32_e32 vcc_lo, 0, v10
	s_and_not1_b32 vcc_hi, vcc_hi, exec_lo
	s_and_b32 vcc_lo, vcc_lo, exec_lo
	s_delay_alu instid0(SALU_CYCLE_1)
	s_or_b32 vcc_hi, vcc_hi, vcc_lo
	s_branch .LBB2_425
.LBB2_430:                              ;   in Loop: Header=BB2_53 Depth=1
	s_or_b32 exec_lo, exec_lo, s26
	s_and_saveexec_b32 s26, s27
	s_delay_alu instid0(SALU_CYCLE_1)
	s_xor_b32 s26, exec_lo, s26
	s_cbranch_execz .LBB2_432
; %bb.431:                              ;   in Loop: Header=BB2_53 Depth=1
	ds_store_b32 v0, v87
	s_cbranch_execnz .LBB2_1448
.LBB2_432:                              ;   in Loop: Header=BB2_53 Depth=1
	s_or_b32 exec_lo, exec_lo, s25
	;;#ASMSTART
	s_wakeup
	;;#ASMEND
.LBB2_433:                              ;   in Loop: Header=BB2_53 Depth=1
	s_or_b32 exec_lo, exec_lo, s14
.LBB2_434:                              ;   in Loop: Header=BB2_53 Depth=1
	s_and_not1_saveexec_b32 s13, s13
	s_cbranch_execz .LBB2_436
; %bb.435:                              ;   in Loop: Header=BB2_53 Depth=1
	s_waitcnt lgkmcnt(0)
	s_waitcnt_vscnt null, 0x0
	buffer_gl1_inv
	buffer_gl0_inv
	s_barrier
.LBB2_436:                              ;   in Loop: Header=BB2_53 Depth=1
	s_or_b32 exec_lo, exec_lo, s13
.LBB2_437:                              ;   in Loop: Header=BB2_53 Depth=1
	s_delay_alu instid0(SALU_CYCLE_1) | instskip(SKIP_1) | instid1(VALU_DEP_1)
	s_or_b32 exec_lo, exec_lo, s12
	v_and_b32_e32 v10, 16, v30
	v_cmp_ne_u32_e32 vcc_lo, 0, v10
	s_and_b32 s12, vcc_lo, s11
	s_delay_alu instid0(SALU_CYCLE_1)
	s_and_saveexec_b32 s11, s12
	s_cbranch_execz .LBB2_439
; %bb.438:                              ;   in Loop: Header=BB2_53 Depth=1
	s_waitcnt lgkmcnt(0)
	s_waitcnt_vscnt null, 0x0
	buffer_gl1_inv
	buffer_gl0_inv
.LBB2_439:                              ;   in Loop: Header=BB2_53 Depth=1
	s_or_b32 exec_lo, exec_lo, s11
	v_cmp_ne_u32_e32 vcc_lo, 0, v10
	s_xor_b32 s11, s10, -1
	s_delay_alu instid0(SALU_CYCLE_1) | instskip(NEXT) | instid1(SALU_CYCLE_1)
	s_and_b32 s12, vcc_lo, s11
	s_and_saveexec_b32 s11, s12
	s_cbranch_execz .LBB2_441
; %bb.440:                              ;   in Loop: Header=BB2_53 Depth=1
	s_waitcnt lgkmcnt(0)
	s_waitcnt_vscnt null, 0x0
	flat_store_b32 v[32:33], v87
.LBB2_441:                              ;   in Loop: Header=BB2_53 Depth=1
	s_or_b32 exec_lo, exec_lo, s11
	v_and_b32_e32 v10, 48, v30
	s_mov_b32 s11, exec_lo
	s_delay_alu instid0(VALU_DEP_1)
	v_cmpx_ne_u32_e32 0, v10
	s_cbranch_execz .LBB2_443
; %bb.442:                              ;   in Loop: Header=BB2_53 Depth=1
	v_add_co_u32 v8, vcc_lo, v8, 1
	v_add_co_ci_u32_e32 v9, vcc_lo, 0, v9, vcc_lo
	s_waitcnt lgkmcnt(0)
	s_waitcnt_vscnt null, 0x0
	flat_store_b64 v[20:21], v[8:9]
.LBB2_443:                              ;   in Loop: Header=BB2_53 Depth=1
	s_or_b32 exec_lo, exec_lo, s11
	v_mov_b32_e32 v12, v96
.LBB2_444:                              ;   in Loop: Header=BB2_53 Depth=1
	s_or_b32 exec_lo, exec_lo, s24
	s_and_saveexec_b32 s12, s23
	s_cbranch_execz .LBB2_504
; %bb.445:                              ;   in Loop: Header=BB2_53 Depth=1
	v_and_b32_e32 v10, 12, v30
	s_mov_b32 s13, -1
	s_mov_b32 s11, exec_lo
	s_delay_alu instid0(VALU_DEP_1)
	v_cmpx_ne_u32_e32 0, v10
	s_cbranch_execz .LBB2_459
; %bb.446:                              ;   in Loop: Header=BB2_53 Depth=1
	v_and_b32_e32 v13, 8, v30
	s_delay_alu instid0(VALU_DEP_1) | instskip(SKIP_3) | instid1(VALU_DEP_1)
	v_add_co_u32 v14, vcc_lo, v24, v13
	v_add_co_ci_u32_e32 v15, vcc_lo, 0, v25, vcc_lo
	v_add_co_u32 v10, vcc_lo, v8, 1
	v_add_co_ci_u32_e32 v11, vcc_lo, 0, v9, vcc_lo
	v_cmp_lt_u64_e32 vcc_lo, v[14:15], v[10:11]
	v_mov_b32_e32 v14, 1
	s_and_saveexec_b32 s13, vcc_lo
	s_cbranch_execz .LBB2_458
; %bb.447:                              ;   in Loop: Header=BB2_53 Depth=1
	v_mov_b32_e32 v14, 0
	s_mov_b32 s14, 0
                                        ; implicit-def: $sgpr23
	s_branch .LBB2_451
.LBB2_448:                              ;   in Loop: Header=BB2_451 Depth=2
	s_or_b32 exec_lo, exec_lo, s27
	v_mov_b32_e32 v15, 0
	s_or_not1_b32 s26, s26, exec_lo
.LBB2_449:                              ;   in Loop: Header=BB2_451 Depth=2
	s_or_b32 exec_lo, exec_lo, s25
	s_delay_alu instid0(VALU_DEP_1) | instskip(SKIP_2) | instid1(SALU_CYCLE_1)
	v_mov_b32_e32 v14, v15
	s_and_not1_b32 s23, s23, exec_lo
	s_and_b32 s25, s26, exec_lo
	s_or_b32 s23, s23, s25
.LBB2_450:                              ;   in Loop: Header=BB2_451 Depth=2
	s_or_b32 exec_lo, exec_lo, s24
	s_waitcnt vmcnt(0) lgkmcnt(0)
	v_add_co_u32 v15, vcc_lo, v24, v13
	v_add_co_ci_u32_e32 v16, vcc_lo, 0, v25, vcc_lo
	s_xor_b32 s24, s23, -1
	s_delay_alu instid0(VALU_DEP_1) | instskip(SKIP_1) | instid1(SALU_CYCLE_1)
	v_cmp_ge_u64_e32 vcc_lo, v[15:16], v[10:11]
	s_or_b32 s24, s24, vcc_lo
	s_and_b32 s24, exec_lo, s24
	s_delay_alu instid0(SALU_CYCLE_1) | instskip(NEXT) | instid1(SALU_CYCLE_1)
	s_or_b32 s14, s24, s14
	s_and_not1_b32 exec_lo, exec_lo, s14
	s_cbranch_execz .LBB2_457
.LBB2_451:                              ;   Parent Loop BB2_53 Depth=1
                                        ; =>  This Inner Loop Header: Depth=2
	s_sleep 1
	flat_load_b64 v[24:25], v[20:21] glc
	v_and_b32_e32 v15, 64, v30
	s_and_not1_b32 s23, s23, exec_lo
	s_mov_b32 s24, exec_lo
	s_delay_alu instid0(VALU_DEP_1)
	v_cmpx_eq_u32_e32 0, v15
	s_cbranch_execz .LBB2_450
; %bb.452:                              ;   in Loop: Header=BB2_451 Depth=2
	v_add_nc_u32_e32 v15, 1, v14
	s_mov_b32 s26, -1
	s_mov_b32 s25, exec_lo
	v_cmpx_lt_i32_e32 0x270e, v14
	s_cbranch_execz .LBB2_449
; %bb.453:                              ;   in Loop: Header=BB2_451 Depth=2
	s_cbranch_execnz .LBB2_1268
; %bb.454:                              ;   in Loop: Header=BB2_451 Depth=2
	ds_load_b64 v[14:15], v0
	s_mov_b32 s27, exec_lo
	s_waitcnt vmcnt(0) lgkmcnt(0)
	s_waitcnt_vscnt null, 0x0
	flat_load_b32 v14, v[14:15] glc
	s_waitcnt vmcnt(0) lgkmcnt(0)
	buffer_gl1_inv
	buffer_gl0_inv
	v_cmpx_ne_u32_e32 0, v14
	s_cbranch_execz .LBB2_448
; %bb.455:                              ;   in Loop: Header=BB2_451 Depth=2
	ds_store_b32 v0, v14
	s_cbranch_execnz .LBB2_1294
; %bb.456:                              ;   in Loop: Header=BB2_451 Depth=2
	v_or_b32_e32 v30, 64, v30
	s_xor_b32 s26, exec_lo, -1
	s_branch .LBB2_448
.LBB2_457:                              ;   in Loop: Header=BB2_53 Depth=1
	s_or_b32 exec_lo, exec_lo, s14
	v_and_b32_e32 v14, 12, v30
.LBB2_458:                              ;   in Loop: Header=BB2_53 Depth=1
	s_or_b32 exec_lo, exec_lo, s13
	s_delay_alu instid0(VALU_DEP_1)
	v_cmp_eq_u32_e32 vcc_lo, 0, v14
	;;#ASMSTART
	s_wakeup
	;;#ASMEND
	s_or_not1_b32 s13, vcc_lo, exec_lo
.LBB2_459:                              ;   in Loop: Header=BB2_53 Depth=1
	s_or_b32 exec_lo, exec_lo, s11
	v_sub_nc_u32_e32 v10, v34, v12
	s_xor_b32 s11, s13, -1
	s_delay_alu instid0(VALU_DEP_1)
	v_min_i32_e32 v10, v96, v10
	s_and_saveexec_b32 s13, s11
	s_cbranch_execz .LBB2_474
; %bb.460:                              ;   in Loop: Header=BB2_53 Depth=1
	v_and_b32_e32 v11, 0x108, v30
	s_mov_b32 s11, exec_lo
	s_delay_alu instid0(VALU_DEP_1)
	v_cmpx_ne_u32_e32 0x108, v11
	s_xor_b32 s11, exec_lo, s11
                                        ; implicit-def: $vgpr12_vgpr13
; %bb.461:                              ;   in Loop: Header=BB2_53 Depth=1
	v_and_b32_e32 v12, 7, v8
; %bb.462:                              ;   in Loop: Header=BB2_53 Depth=1
	s_and_not1_saveexec_b32 s11, s11
	s_cbranch_execz .LBB2_464
; %bb.463:                              ;   in Loop: Header=BB2_53 Depth=1
	v_and_b32_e32 v12, 7, v8
	v_ashrrev_i32_e32 v11, 31, v10
	s_delay_alu instid0(VALU_DEP_2) | instskip(NEXT) | instid1(VALU_DEP_2)
	v_mad_u64_u32 v[13:14], null, v12, 24, v[6:7]
	v_lshlrev_b64 v[15:16], 1, v[10:11]
	flat_store_b64 v[13:14], v[15:16] offset:8
.LBB2_464:                              ;   in Loop: Header=BB2_53 Depth=1
	s_or_b32 exec_lo, exec_lo, s11
	v_and_b32_e32 v11, 0x100, v30
	s_mov_b32 s11, -1
	s_mov_b32 s14, exec_lo
                                        ; implicit-def: $vgpr13_vgpr14
	s_delay_alu instid0(VALU_DEP_1)
	v_cmpx_ne_u32_e32 0, v11
	s_cbranch_execnz .LBB2_467
; %bb.465:                              ;   in Loop: Header=BB2_53 Depth=1
	s_or_b32 exec_lo, exec_lo, s14
	s_and_saveexec_b32 s14, s11
	s_cbranch_execnz .LBB2_470
.LBB2_466:                              ;   in Loop: Header=BB2_53 Depth=1
	s_or_b32 exec_lo, exec_lo, s14
	s_cbranch_execnz .LBB2_1260
	s_branch .LBB2_471
.LBB2_467:                              ;   in Loop: Header=BB2_53 Depth=1
	v_mad_u64_u32 v[15:16], null, v12, 24, v[6:7]
	s_mov_b32 s23, exec_lo
	s_delay_alu instid0(VALU_DEP_1) | instskip(NEXT) | instid1(VALU_DEP_1)
	v_mov_b32_e32 v11, v16
	v_mad_u64_u32 v[13:14], null, v36, 24, v[11:12]
	s_delay_alu instid0(VALU_DEP_1)
	v_mov_b32_e32 v16, v13
                                        ; implicit-def: $vgpr13_vgpr14
	flat_load_b32 v11, v[15:16]
	s_waitcnt vmcnt(0) lgkmcnt(0)
	v_cmp_ne_u32_e32 vcc_lo, 1, v11
	v_cmpx_eq_u32_e32 1, v11
	s_cbranch_execz .LBB2_469
; %bb.468:                              ;   in Loop: Header=BB2_53 Depth=1
	flat_load_b32 v13, v[15:16] offset:4 glc
	s_waitcnt vmcnt(0) lgkmcnt(0)
	v_ashrrev_i32_e32 v14, 31, v13
	s_delay_alu instid0(VALU_DEP_1)
	v_lshrrev_b64 v[13:14], 1, v[13:14]
.LBB2_469:                              ;   in Loop: Header=BB2_53 Depth=1
	s_or_b32 exec_lo, exec_lo, s23
	s_delay_alu instid0(SALU_CYCLE_1)
	s_or_not1_b32 s11, vcc_lo, exec_lo
	s_or_b32 exec_lo, exec_lo, s14
	s_and_saveexec_b32 s14, s11
	s_cbranch_execz .LBB2_466
.LBB2_470:                              ;   in Loop: Header=BB2_53 Depth=1
	v_mul_lo_u32 v11, v36, v65
	v_mul_lo_u32 v15, v12, v39
	v_mad_u64_u32 v[13:14], null, v12, v65, 0
	s_delay_alu instid0(VALU_DEP_1)
	v_add3_u32 v14, v14, v15, v11
	s_or_b32 exec_lo, exec_lo, s14
	s_cbranch_execnz .LBB2_1260
.LBB2_471:                              ;   in Loop: Header=BB2_53 Depth=1
	s_delay_alu instid0(VALU_DEP_1) | instskip(SKIP_2) | instid1(VALU_DEP_2)
	v_lshlrev_b64 v[11:12], 1, v[13:14]
	v_and_b32_e32 v13, 0x2000, v30
	s_mov_b32 s11, exec_lo
	v_add_co_u32 v11, vcc_lo, v22, v11
	s_delay_alu instid0(VALU_DEP_3)
	v_add_co_ci_u32_e32 v12, vcc_lo, v23, v12, vcc_lo
	ds_store_b64 v0, v[11:12]
	v_cmpx_ne_u32_e32 0, v13
	s_cbranch_execz .LBB2_473
; %bb.472:                              ;   in Loop: Header=BB2_53 Depth=1
	ds_load_b64 v[11:12], v0 offset:584
	s_waitcnt lgkmcnt(0)
	v_add_co_u32 v11, vcc_lo, v11, 1
	v_add_co_ci_u32_e32 v12, vcc_lo, 0, v12, vcc_lo
	ds_store_b64 v0, v[11:12] offset:584
.LBB2_473:                              ;   in Loop: Header=BB2_53 Depth=1
	s_or_b32 exec_lo, exec_lo, s11
	v_add_co_u32 v8, vcc_lo, v8, 1
	v_add_co_ci_u32_e32 v9, vcc_lo, 0, v9, vcc_lo
.LBB2_474:                              ;   in Loop: Header=BB2_53 Depth=1
	s_or_b32 exec_lo, exec_lo, s13
	s_and_saveexec_b32 s11, s3
	s_cbranch_execz .LBB2_496
; %bb.475:                              ;   in Loop: Header=BB2_53 Depth=1
	s_and_saveexec_b32 s13, s4
	s_delay_alu instid0(SALU_CYCLE_1)
	s_xor_b32 s13, exec_lo, s13
	s_cbranch_execz .LBB2_493
; %bb.476:                              ;   in Loop: Header=BB2_53 Depth=1
	s_and_saveexec_b32 s14, s5
	s_cbranch_execz .LBB2_492
; %bb.477:                              ;   in Loop: Header=BB2_53 Depth=1
	s_mov_b32 s24, exec_lo
	s_mov_b32 s23, exec_lo
	v_mbcnt_lo_u32_b32 v11, s24, 0
	s_waitcnt lgkmcnt(0)
	s_waitcnt_vscnt null, 0x0
	buffer_gl1_inv
	buffer_gl0_inv
	v_cmpx_eq_u32_e32 0, v11
	s_cbranch_execz .LBB2_479
; %bb.478:                              ;   in Loop: Header=BB2_53 Depth=1
	s_bcnt1_i32_b32 s24, s24
	s_delay_alu instid0(SALU_CYCLE_1)
	v_mov_b32_e32 v35, s24
	ds_add_u64 v0, v[35:36]
	s_cbranch_execnz .LBB2_1326
.LBB2_479:                              ;   in Loop: Header=BB2_53 Depth=1
	s_or_b32 exec_lo, exec_lo, s23
	s_cbranch_execnz .LBB2_1310
; %bb.480:                              ;   in Loop: Header=BB2_53 Depth=1
	ds_load_b64 v[11:12], v0
	v_add_co_u32 v26, vcc_lo, v26, v66
	v_add_co_ci_u32_e32 v27, vcc_lo, 0, v27, vcc_lo
	s_mov_b32 s23, exec_lo
	s_waitcnt lgkmcnt(0)
	s_delay_alu instid0(VALU_DEP_1)
	v_cmpx_lt_u64_e64 v[11:12], v[26:27]
	s_cbranch_execz .LBB2_491
; %bb.481:                              ;   in Loop: Header=BB2_53 Depth=1
	s_mov_b32 s24, 0
	s_mov_b32 s27, 0
                                        ; implicit-def: $sgpr25
                                        ; implicit-def: $sgpr26
	s_branch .LBB2_483
.LBB2_482:                              ;   in Loop: Header=BB2_483 Depth=2
	s_or_b32 exec_lo, exec_lo, vcc_hi
	s_delay_alu instid0(SALU_CYCLE_1) | instskip(NEXT) | instid1(SALU_CYCLE_1)
	s_and_b32 s28, exec_lo, s29
	s_or_b32 s24, s28, s24
	s_and_not1_b32 s25, s25, exec_lo
	s_and_b32 s28, s26, exec_lo
	s_delay_alu instid0(SALU_CYCLE_1)
	s_or_b32 s25, s25, s28
	s_and_not1_b32 exec_lo, exec_lo, s24
	s_cbranch_execz .LBB2_489
.LBB2_483:                              ;   Parent Loop BB2_53 Depth=1
                                        ; =>  This Inner Loop Header: Depth=2
	s_add_i32 s27, s27, 1
                                        ; implicit-def: $sgpr29
	s_delay_alu instid0(SALU_CYCLE_1) | instskip(SKIP_1) | instid1(SALU_CYCLE_1)
	s_cmpk_lg_i32 s27, 0x2710
	s_cselect_b32 s28, -1, 0
	s_and_b32 vcc_lo, exec_lo, s28
	s_cbranch_vccz .LBB2_487
.LBB2_484:                              ;   in Loop: Header=BB2_483 Depth=2
	s_and_not1_b32 s26, s26, exec_lo
	s_and_b32 vcc_lo, s29, exec_lo
	s_mov_b32 s29, -1
	s_or_b32 s26, s26, vcc_lo
	s_and_saveexec_b32 vcc_hi, s28
	s_cbranch_execz .LBB2_482
; %bb.485:                              ;   in Loop: Header=BB2_483 Depth=2
	s_sleep 1
	s_cbranch_execnz .LBB2_1362
; %bb.486:                              ;   in Loop: Header=BB2_483 Depth=2
	ds_load_b64 v[11:12], v0
	s_and_not1_b32 s26, s26, exec_lo
	s_waitcnt lgkmcnt(0)
	v_cmp_ge_u64_e32 vcc_lo, v[11:12], v[26:27]
	s_or_not1_b32 s29, vcc_lo, exec_lo
	s_branch .LBB2_482
.LBB2_487:                              ;   in Loop: Header=BB2_483 Depth=2
	s_cbranch_execnz .LBB2_1378
; %bb.488:                              ;   in Loop: Header=BB2_483 Depth=2
	ds_load_b64 v[11:12], v0
	s_and_not1_b32 s28, s28, exec_lo
	s_mov_b32 s27, 0
	s_mov_b32 s29, -1
	s_waitcnt lgkmcnt(0)
	flat_load_b32 v11, v[11:12] glc
	s_waitcnt vmcnt(0) lgkmcnt(0)
	buffer_gl1_inv
	buffer_gl0_inv
	v_cmp_eq_u32_e32 vcc_lo, 0, v11
	s_and_b32 vcc_lo, vcc_lo, exec_lo
	s_delay_alu instid0(SALU_CYCLE_1)
	s_or_b32 s28, s28, vcc_lo
	s_branch .LBB2_484
.LBB2_489:                              ;   in Loop: Header=BB2_53 Depth=1
	s_or_b32 exec_lo, exec_lo, s24
	s_and_saveexec_b32 s24, s25
	s_delay_alu instid0(SALU_CYCLE_1)
	s_xor_b32 s24, exec_lo, s24
	s_cbranch_execz .LBB2_491
; %bb.490:                              ;   in Loop: Header=BB2_53 Depth=1
	ds_store_b32 v0, v87
	s_cbranch_execnz .LBB2_1438
.LBB2_491:                              ;   in Loop: Header=BB2_53 Depth=1
	s_or_b32 exec_lo, exec_lo, s23
	;;#ASMSTART
	s_wakeup
	;;#ASMEND
.LBB2_492:                              ;   in Loop: Header=BB2_53 Depth=1
	s_or_b32 exec_lo, exec_lo, s14
.LBB2_493:                              ;   in Loop: Header=BB2_53 Depth=1
	s_and_not1_saveexec_b32 s13, s13
	s_cbranch_execz .LBB2_495
; %bb.494:                              ;   in Loop: Header=BB2_53 Depth=1
	s_waitcnt lgkmcnt(0)
	s_waitcnt_vscnt null, 0x0
	buffer_gl1_inv
	buffer_gl0_inv
	s_barrier
.LBB2_495:                              ;   in Loop: Header=BB2_53 Depth=1
	s_or_b32 exec_lo, exec_lo, s13
.LBB2_496:                              ;   in Loop: Header=BB2_53 Depth=1
	s_delay_alu instid0(SALU_CYCLE_1)
	s_or_b32 exec_lo, exec_lo, s11
	s_cbranch_execnz .LBB2_1249
; %bb.497:                              ;   in Loop: Header=BB2_53 Depth=1
	ds_load_b32 v11, v0
	v_cmp_lt_i32_e32 vcc_lo, 0, v10
	s_waitcnt lgkmcnt(0)
	v_readfirstlane_b32 s11, v11
	v_and_b32_e32 v11, 16, v30
	s_delay_alu instid0(VALU_DEP_2) | instskip(NEXT) | instid1(VALU_DEP_1)
	s_cmp_eq_u32 s11, 0
	v_cmp_ne_u32_e64 s11, 0, v11
	s_cselect_b32 s13, -1, 0
	s_delay_alu instid0(SALU_CYCLE_1)
	s_and_b32 s13, vcc_lo, s13
	s_delay_alu instid0(VALU_DEP_1) | instid1(SALU_CYCLE_1)
	s_and_b32 s13, s11, s13
	s_delay_alu instid0(SALU_CYCLE_1)
	s_and_saveexec_b32 s11, s13
	s_cbranch_execz .LBB2_499
; %bb.498:                              ;   in Loop: Header=BB2_53 Depth=1
	s_waitcnt_vscnt null, 0x0
	buffer_gl1_inv
	buffer_gl0_inv
.LBB2_499:                              ;   in Loop: Header=BB2_53 Depth=1
	s_or_b32 exec_lo, exec_lo, s11
	v_cmp_ne_u32_e32 vcc_lo, 0, v11
	s_xor_b32 s11, s10, -1
	s_delay_alu instid0(SALU_CYCLE_1) | instskip(NEXT) | instid1(SALU_CYCLE_1)
	s_and_b32 s13, vcc_lo, s11
	s_and_saveexec_b32 s11, s13
	s_cbranch_execz .LBB2_501
; %bb.500:                              ;   in Loop: Header=BB2_53 Depth=1
	s_waitcnt_vscnt null, 0x0
	flat_store_b32 v[32:33], v87
.LBB2_501:                              ;   in Loop: Header=BB2_53 Depth=1
	s_or_b32 exec_lo, exec_lo, s11
	v_and_b32_e32 v10, 48, v30
	s_mov_b32 s11, exec_lo
	s_delay_alu instid0(VALU_DEP_1)
	v_cmpx_ne_u32_e32 0, v10
	s_cbranch_execz .LBB2_503
; %bb.502:                              ;   in Loop: Header=BB2_53 Depth=1
	v_add_co_u32 v8, vcc_lo, v8, 1
	v_add_co_ci_u32_e32 v9, vcc_lo, 0, v9, vcc_lo
	s_waitcnt lgkmcnt(0)
	s_waitcnt_vscnt null, 0x0
	flat_store_b64 v[20:21], v[8:9]
.LBB2_503:                              ;   in Loop: Header=BB2_53 Depth=1
	s_or_b32 exec_lo, exec_lo, s11
.LBB2_504:                              ;   in Loop: Header=BB2_53 Depth=1
	s_delay_alu instid0(SALU_CYCLE_1) | instskip(SKIP_2) | instid1(VALU_DEP_1)
	s_or_b32 exec_lo, exec_lo, s12
	v_add_co_u32 v37, vcc_lo, v37, v28
	v_add_co_ci_u32_e32 v38, vcc_lo, 0, v38, vcc_lo
	v_cmp_ge_u64_e32 vcc_lo, v[37:38], v[4:5]
	s_or_b32 s20, vcc_lo, s20
	s_delay_alu instid0(SALU_CYCLE_1)
	s_and_not1_b32 exec_lo, exec_lo, s20
	s_cbranch_execnz .LBB2_53
; %bb.505:
	s_or_b32 exec_lo, exec_lo, s20
.LBB2_506:
	s_delay_alu instid0(SALU_CYCLE_1)
	s_or_b32 exec_lo, exec_lo, s19
                                        ; implicit-def: $vgpr34_vgpr35
                                        ; implicit-def: $vgpr4_vgpr5
                                        ; implicit-def: $vgpr65
                                        ; implicit-def: $vgpr24_vgpr25
                                        ; implicit-def: $vgpr22_vgpr23
                                        ; implicit-def: $vgpr20_vgpr21
                                        ; implicit-def: $vgpr0
                                        ; implicit-def: $vgpr37
                                        ; implicit-def: $vgpr28_vgpr29
.LBB2_507:
	s_and_not1_saveexec_b32 s13, s18
	s_cbranch_execz .LBB2_953
; %bb.508:
	v_mov_b32_e32 v26, 0
	v_mov_b32_e32 v27, 0
	s_and_saveexec_b32 s14, s1
	s_cbranch_execz .LBB2_952
; %bb.509:
	v_cmp_ge_i32_e64 s1, v0, v1
	s_cbranch_execnz .LBB2_1205
; %bb.510:
	v_ashrrev_i32_e32 v10, 31, v0
	v_lshrrev_b32_e32 v54, 5, v1
	v_and_b32_e32 v11, 31, v31
	s_lshr_b32 s4, s16, 27
	v_cmp_eq_u32_e32 vcc_lo, 32, v1
	v_lshrrev_b32_e32 v10, 27, v10
	v_lshlrev_b32_e32 v66, 9, v54
	s_add_i32 s10, s16, s4
	v_lshlrev_b32_e32 v69, 6, v54
	v_cmp_ne_u32_e64 s2, 32, v1
	v_dual_mov_b32 v33, 0 :: v_dual_add_nc_u32 v10, v0, v10
	v_cmp_ne_u32_e64 s3, v64, v1
	s_ashr_i32 s19, s10, 5
	s_mov_b32 s18, 0
	s_delay_alu instid0(VALU_DEP_2) | instskip(SKIP_2) | instid1(VALU_DEP_2)
	v_dual_mov_b32 v85, 1 :: v_dual_and_b32 v12, 0xffffffe0, v10
	v_ashrrev_i32_e32 v10, 5, v10
	s_xor_b32 s20, vcc_lo, -1
	v_sub_nc_u32_e32 v68, v0, v12
	v_lshl_add_u32 v12, v54, 8, 0xffffff00
	s_delay_alu instid0(VALU_DEP_3) | instskip(NEXT) | instid1(VALU_DEP_3)
	v_sub_nc_u32_e32 v70, 0, v10
	v_cmp_le_i32_e64 s5, v68, v37
	v_mov_b32_e32 v36, 0
	v_cmp_eq_u32_e64 s4, 0, v11
	v_mov_b32_e32 v37, 0
	v_add_nc_u32_e32 v11, 0xfffffe00, v66
	v_ashrrev_i32_e32 v10, 31, v12
	v_dual_mov_b32 v26, v36 :: v_dual_lshlrev_b32 v55, 4, v0
	v_cmp_gt_i32_e64 s6, 1, v68
	s_delay_alu instid0(VALU_DEP_4) | instskip(SKIP_3) | instid1(VALU_DEP_4)
	v_ashrrev_i32_e32 v13, 31, v11
	v_add_co_u32 v71, s7, 0x200, v11
	v_subrev_nc_u32_e32 v11, 64, v69
	v_ashrrev_i32_e32 v67, 31, v55
	v_add_co_ci_u32_e64 v80, s7, 0, v13, s7
	v_add_co_u32 v81, s7, 0x100, v12
	s_delay_alu instid0(VALU_DEP_1) | instskip(SKIP_3) | instid1(VALU_DEP_3)
	v_add_co_ci_u32_e64 v82, s7, 0, v10, s7
	v_ashrrev_i32_e32 v10, 31, v11
	v_add_co_u32 v83, s7, v11, 64
	v_mov_b32_e32 v27, v37
	v_add_co_ci_u32_e64 v84, s7, 0, v10, s7
.LBB2_511:                              ; =>This Loop Header: Depth=1
                                        ;     Child Loop BB2_521 Depth 2
                                        ;     Child Loop BB2_548 Depth 2
	;; [unrolled: 1-line block ×10, first 2 shown]
	v_sub_co_u32 v10, vcc_lo, v4, v36
	v_sub_co_ci_u32_e32 v11, vcc_lo, v5, v37, vcc_lo
	v_mov_b32_e32 v14, 0
	s_delay_alu instid0(VALU_DEP_2) | instskip(SKIP_2) | instid1(VALU_DEP_2)
	v_cmp_lt_u64_e32 vcc_lo, v[28:29], v[10:11]
	v_cndmask_b32_e32 v38, v10, v28, vcc_lo
	v_cndmask_b32_e64 v39, v11, 0, vcc_lo
	v_add_nc_u32_e32 v10, 15, v38
	s_delay_alu instid0(VALU_DEP_2) | instskip(NEXT) | instid1(VALU_DEP_2)
	v_cmp_eq_u64_e32 vcc_lo, 0, v[38:39]
	v_and_b32_e32 v10, 0x3ffffff0, v10
	s_or_b32 s21, s1, vcc_lo
	s_delay_alu instid0(SALU_CYCLE_1) | instskip(NEXT) | instid1(VALU_DEP_1)
	s_xor_b32 s7, s21, -1
	v_max_i32_e32 v39, s19, v10
	s_and_saveexec_b32 s22, s7
	s_cbranch_execz .LBB2_897
; %bb.512:                              ;   in Loop: Header=BB2_511 Depth=1
	s_and_saveexec_b32 s10, s0
	s_cbranch_execz .LBB2_515
; %bb.513:                              ;   in Loop: Header=BB2_511 Depth=1
	s_cbranch_execnz .LBB2_1239
; %bb.514:                              ;   in Loop: Header=BB2_511 Depth=1
	ds_load_2addr_b64 v[10:13], v0 offset1:1
	ds_load_b64 v[14:15], v0
	v_add_co_u32 v16, vcc_lo, v36, v34
	v_add_co_ci_u32_e32 v17, vcc_lo, v37, v35, vcc_lo
	s_delay_alu instid0(VALU_DEP_1) | instskip(SKIP_1) | instid1(VALU_DEP_1)
	v_lshlrev_b64 v[16:17], 1, v[16:17]
	s_waitcnt lgkmcnt(1)
	v_add_co_u32 v10, vcc_lo, v10, v16
	s_delay_alu instid0(VALU_DEP_2)
	v_add_co_ci_u32_e32 v11, vcc_lo, v11, v17, vcc_lo
	s_waitcnt lgkmcnt(0)
	v_add_co_u32 v32, vcc_lo, v14, v16
	v_add_co_ci_u32_e32 v48, vcc_lo, v15, v17, vcc_lo
	v_cmp_ne_u64_e32 vcc_lo, 0, v[14:15]
	v_add_co_u32 v12, s7, v12, v16
	s_delay_alu instid0(VALU_DEP_1) | instskip(NEXT) | instid1(VALU_DEP_4)
	v_add_co_ci_u32_e64 v13, s7, v13, v17, s7
	v_cndmask_b32_e32 v15, 0, v48, vcc_lo
	v_cndmask_b32_e32 v14, 0, v32, vcc_lo
	ds_store_b64 v0, v[10:11]
	ds_store_b64 v0, v[12:13]
	;; [unrolled: 1-line block ×3, first 2 shown]
.LBB2_515:                              ;   in Loop: Header=BB2_511 Depth=1
	s_or_b32 exec_lo, exec_lo, s10
	v_and_b32_e32 v10, 4, v30
	s_mov_b32 s10, -1
	s_mov_b32 s7, exec_lo
	s_delay_alu instid0(VALU_DEP_1)
	v_cmpx_ne_u32_e32 0, v10
	s_cbranch_execz .LBB2_529
; %bb.516:                              ;   in Loop: Header=BB2_511 Depth=1
	v_add_co_u32 v10, vcc_lo, v8, 1
	v_add_co_ci_u32_e32 v11, vcc_lo, 0, v9, vcc_lo
	v_mov_b32_e32 v12, 1
	s_mov_b32 s10, exec_lo
	s_delay_alu instid0(VALU_DEP_2)
	v_cmpx_lt_u64_e64 v[24:25], v[10:11]
	s_cbranch_execz .LBB2_528
; %bb.517:                              ;   in Loop: Header=BB2_511 Depth=1
	v_mov_b32_e32 v12, 0
	s_mov_b32 s11, 0
                                        ; implicit-def: $sgpr12
	s_branch .LBB2_521
.LBB2_518:                              ;   in Loop: Header=BB2_521 Depth=2
	s_or_b32 exec_lo, exec_lo, s26
	v_mov_b32_e32 v13, 0
	s_or_not1_b32 s25, s25, exec_lo
.LBB2_519:                              ;   in Loop: Header=BB2_521 Depth=2
	s_or_b32 exec_lo, exec_lo, s24
	s_delay_alu instid0(VALU_DEP_1) | instskip(SKIP_2) | instid1(SALU_CYCLE_1)
	v_mov_b32_e32 v12, v13
	s_and_not1_b32 s12, s12, exec_lo
	s_and_b32 s24, s25, exec_lo
	s_or_b32 s12, s12, s24
.LBB2_520:                              ;   in Loop: Header=BB2_521 Depth=2
	s_or_b32 exec_lo, exec_lo, s23
	s_waitcnt vmcnt(0) lgkmcnt(0)
	v_cmp_ge_u64_e32 vcc_lo, v[24:25], v[10:11]
	s_xor_b32 s23, s12, -1
	s_delay_alu instid0(SALU_CYCLE_1) | instskip(NEXT) | instid1(SALU_CYCLE_1)
	s_or_b32 s23, s23, vcc_lo
	s_and_b32 s23, exec_lo, s23
	s_delay_alu instid0(SALU_CYCLE_1) | instskip(NEXT) | instid1(SALU_CYCLE_1)
	s_or_b32 s11, s23, s11
	s_and_not1_b32 exec_lo, exec_lo, s11
	s_cbranch_execz .LBB2_527
.LBB2_521:                              ;   Parent Loop BB2_511 Depth=1
                                        ; =>  This Inner Loop Header: Depth=2
	s_sleep 1
	flat_load_b64 v[24:25], v[20:21] glc
	v_and_b32_e32 v13, 64, v30
	s_and_not1_b32 s12, s12, exec_lo
	s_mov_b32 s23, exec_lo
	s_delay_alu instid0(VALU_DEP_1)
	v_cmpx_eq_u32_e32 0, v13
	s_cbranch_execz .LBB2_520
; %bb.522:                              ;   in Loop: Header=BB2_521 Depth=2
	v_add_nc_u32_e32 v13, 1, v12
	s_mov_b32 s25, -1
	s_mov_b32 s24, exec_lo
	v_cmpx_lt_i32_e32 0x270e, v12
	s_cbranch_execz .LBB2_519
; %bb.523:                              ;   in Loop: Header=BB2_521 Depth=2
	s_cbranch_execnz .LBB2_1262
; %bb.524:                              ;   in Loop: Header=BB2_521 Depth=2
	ds_load_b64 v[12:13], v0
	s_mov_b32 s26, exec_lo
	s_waitcnt vmcnt(0) lgkmcnt(0)
	s_waitcnt_vscnt null, 0x0
	flat_load_b32 v12, v[12:13] glc
	s_waitcnt vmcnt(0) lgkmcnt(0)
	buffer_gl1_inv
	buffer_gl0_inv
	v_cmpx_ne_u32_e32 0, v12
	s_cbranch_execz .LBB2_518
; %bb.525:                              ;   in Loop: Header=BB2_521 Depth=2
	ds_store_b32 v0, v12
	s_cbranch_execnz .LBB2_1290
; %bb.526:                              ;   in Loop: Header=BB2_521 Depth=2
	v_or_b32_e32 v30, 64, v30
	s_xor_b32 s25, exec_lo, -1
	s_branch .LBB2_518
.LBB2_527:                              ;   in Loop: Header=BB2_511 Depth=1
	s_or_b32 exec_lo, exec_lo, s11
	v_and_b32_e32 v12, 4, v30
.LBB2_528:                              ;   in Loop: Header=BB2_511 Depth=1
	s_or_b32 exec_lo, exec_lo, s10
	s_delay_alu instid0(VALU_DEP_1)
	v_cmp_eq_u32_e32 vcc_lo, 0, v12
	;;#ASMSTART
	s_wakeup
	;;#ASMEND
	s_or_not1_b32 s10, vcc_lo, exec_lo
.LBB2_529:                              ;   in Loop: Header=BB2_511 Depth=1
	s_or_b32 exec_lo, exec_lo, s7
	s_xor_b32 s7, s10, -1
	s_delay_alu instid0(SALU_CYCLE_1)
	s_and_saveexec_b32 s10, s7
	s_cbranch_execz .LBB2_539
; %bb.530:                              ;   in Loop: Header=BB2_511 Depth=1
	v_and_b32_e32 v10, 0x100, v30
	v_and_b32_e32 v14, 7, v8
	s_mov_b32 s7, -1
	s_delay_alu instid0(VALU_DEP_2)
	v_cmp_ne_u32_e32 vcc_lo, 0, v10
                                        ; implicit-def: $vgpr10_vgpr11
	s_and_saveexec_b32 s11, vcc_lo
	s_cbranch_execz .LBB2_534
; %bb.531:                              ;   in Loop: Header=BB2_511 Depth=1
	v_mad_u64_u32 v[12:13], null, v14, 24, v[6:7]
	flat_load_b32 v10, v[12:13]
	s_waitcnt vmcnt(0) lgkmcnt(0)
	v_cmp_ne_u32_e32 vcc_lo, 1, v10
	v_cmp_eq_u32_e64 s7, 1, v10
                                        ; implicit-def: $vgpr10_vgpr11
	s_delay_alu instid0(VALU_DEP_1)
	s_and_saveexec_b32 s12, s7
	s_cbranch_execz .LBB2_533
; %bb.532:                              ;   in Loop: Header=BB2_511 Depth=1
	flat_load_b32 v10, v[12:13] offset:4 glc
	s_waitcnt vmcnt(0) lgkmcnt(0)
	v_ashrrev_i32_e32 v11, 31, v10
	s_delay_alu instid0(VALU_DEP_1)
	v_lshrrev_b64 v[10:11], 1, v[10:11]
.LBB2_533:                              ;   in Loop: Header=BB2_511 Depth=1
	s_or_b32 exec_lo, exec_lo, s12
	s_delay_alu instid0(SALU_CYCLE_1)
	s_or_not1_b32 s7, vcc_lo, exec_lo
.LBB2_534:                              ;   in Loop: Header=BB2_511 Depth=1
	s_or_b32 exec_lo, exec_lo, s11
	s_and_saveexec_b32 s11, s7
; %bb.535:                              ;   in Loop: Header=BB2_511 Depth=1
	v_mad_i64_i32 v[10:11], null, v14, v65, 0
; %bb.536:                              ;   in Loop: Header=BB2_511 Depth=1
	s_or_b32 exec_lo, exec_lo, s11
	s_delay_alu instid0(VALU_DEP_1) | instskip(SKIP_2) | instid1(VALU_DEP_2)
	v_lshlrev_b64 v[10:11], 1, v[10:11]
	v_and_b32_e32 v12, 0x2000, v30
	s_mov_b32 s7, exec_lo
	v_add_co_u32 v10, vcc_lo, v22, v10
	s_delay_alu instid0(VALU_DEP_3)
	v_add_co_ci_u32_e32 v11, vcc_lo, v23, v11, vcc_lo
	ds_store_b64 v0, v[10:11] offset:728
	v_cmpx_ne_u32_e32 0, v12
	s_cbranch_execz .LBB2_538
; %bb.537:                              ;   in Loop: Header=BB2_511 Depth=1
	ds_load_b64 v[10:11], v0 offset:584
	s_waitcnt lgkmcnt(0)
	v_add_co_u32 v10, vcc_lo, v10, 1
	v_add_co_ci_u32_e32 v11, vcc_lo, 0, v11, vcc_lo
	ds_store_b64 v0, v[10:11] offset:584
.LBB2_538:                              ;   in Loop: Header=BB2_511 Depth=1
	s_or_b32 exec_lo, exec_lo, s7
	v_add_co_u32 v8, vcc_lo, v8, 1
	v_add_co_ci_u32_e32 v9, vcc_lo, 0, v9, vcc_lo
.LBB2_539:                              ;   in Loop: Header=BB2_511 Depth=1
	s_or_b32 exec_lo, exec_lo, s10
	s_and_saveexec_b32 s7, s2
	s_cbranch_execz .LBB2_561
; %bb.540:                              ;   in Loop: Header=BB2_511 Depth=1
	s_and_saveexec_b32 s10, s3
	s_delay_alu instid0(SALU_CYCLE_1)
	s_xor_b32 s10, exec_lo, s10
	s_cbranch_execz .LBB2_558
; %bb.541:                              ;   in Loop: Header=BB2_511 Depth=1
	s_and_saveexec_b32 s11, s4
	s_cbranch_execz .LBB2_557
; %bb.542:                              ;   in Loop: Header=BB2_511 Depth=1
	s_mov_b32 s23, exec_lo
	s_mov_b32 s12, exec_lo
	v_mbcnt_lo_u32_b32 v10, s23, 0
	s_waitcnt lgkmcnt(0)
	s_waitcnt_vscnt null, 0x0
	buffer_gl1_inv
	buffer_gl0_inv
	v_cmpx_eq_u32_e32 0, v10
	s_cbranch_execz .LBB2_544
; %bb.543:                              ;   in Loop: Header=BB2_511 Depth=1
	s_bcnt1_i32_b32 s23, s23
	s_delay_alu instid0(SALU_CYCLE_1)
	v_mov_b32_e32 v32, s23
	ds_add_u64 v0, v[32:33]
	s_cbranch_execnz .LBB2_1312
.LBB2_544:                              ;   in Loop: Header=BB2_511 Depth=1
	s_or_b32 exec_lo, exec_lo, s12
	s_cbranch_execnz .LBB2_1300
; %bb.545:                              ;   in Loop: Header=BB2_511 Depth=1
	ds_load_b64 v[10:11], v0
	v_add_co_u32 v26, vcc_lo, v26, v54
	v_add_co_ci_u32_e32 v27, vcc_lo, 0, v27, vcc_lo
	s_mov_b32 s12, exec_lo
	s_waitcnt lgkmcnt(0)
	s_delay_alu instid0(VALU_DEP_1)
	v_cmpx_lt_u64_e64 v[10:11], v[26:27]
	s_cbranch_execz .LBB2_556
; %bb.546:                              ;   in Loop: Header=BB2_511 Depth=1
	s_mov_b32 s23, 0
	s_mov_b32 s26, 0
                                        ; implicit-def: $sgpr24
                                        ; implicit-def: $sgpr25
	s_branch .LBB2_548
.LBB2_547:                              ;   in Loop: Header=BB2_548 Depth=2
	s_or_b32 exec_lo, exec_lo, s29
	s_delay_alu instid0(SALU_CYCLE_1) | instskip(NEXT) | instid1(SALU_CYCLE_1)
	s_and_b32 s27, exec_lo, s28
	s_or_b32 s23, s27, s23
	s_and_not1_b32 s24, s24, exec_lo
	s_and_b32 s27, s25, exec_lo
	s_delay_alu instid0(SALU_CYCLE_1)
	s_or_b32 s24, s24, s27
	s_and_not1_b32 exec_lo, exec_lo, s23
	s_cbranch_execz .LBB2_554
.LBB2_548:                              ;   Parent Loop BB2_511 Depth=1
                                        ; =>  This Inner Loop Header: Depth=2
	s_add_i32 s26, s26, 1
                                        ; implicit-def: $sgpr28
	s_delay_alu instid0(SALU_CYCLE_1) | instskip(SKIP_1) | instid1(SALU_CYCLE_1)
	s_cmpk_lg_i32 s26, 0x2710
	s_cselect_b32 s27, -1, 0
	s_and_b32 vcc_lo, exec_lo, s27
	s_cbranch_vccz .LBB2_552
.LBB2_549:                              ;   in Loop: Header=BB2_548 Depth=2
	s_and_not1_b32 s25, s25, exec_lo
	s_and_b32 s29, s28, exec_lo
	s_mov_b32 s28, -1
	s_or_b32 s25, s25, s29
	s_and_saveexec_b32 s29, s27
	s_cbranch_execz .LBB2_547
; %bb.550:                              ;   in Loop: Header=BB2_548 Depth=2
	s_sleep 1
	s_cbranch_execnz .LBB2_1344
; %bb.551:                              ;   in Loop: Header=BB2_548 Depth=2
	ds_load_b64 v[10:11], v0
	s_and_not1_b32 s25, s25, exec_lo
	s_waitcnt lgkmcnt(0)
	v_cmp_ge_u64_e32 vcc_lo, v[10:11], v[26:27]
	s_or_not1_b32 s28, vcc_lo, exec_lo
	s_branch .LBB2_547
.LBB2_552:                              ;   in Loop: Header=BB2_548 Depth=2
	s_cbranch_execnz .LBB2_1352
; %bb.553:                              ;   in Loop: Header=BB2_548 Depth=2
	ds_load_b64 v[10:11], v0
	s_and_not1_b32 s27, s27, exec_lo
	s_mov_b32 s26, 0
	s_mov_b32 s28, -1
	s_waitcnt lgkmcnt(0)
	flat_load_b32 v10, v[10:11] glc
	s_waitcnt vmcnt(0) lgkmcnt(0)
	buffer_gl1_inv
	buffer_gl0_inv
	v_cmp_eq_u32_e32 vcc_lo, 0, v10
	s_and_b32 s29, vcc_lo, exec_lo
	s_delay_alu instid0(SALU_CYCLE_1)
	s_or_b32 s27, s27, s29
	s_branch .LBB2_549
.LBB2_554:                              ;   in Loop: Header=BB2_511 Depth=1
	s_or_b32 exec_lo, exec_lo, s23
	s_and_saveexec_b32 s23, s24
	s_delay_alu instid0(SALU_CYCLE_1)
	s_xor_b32 s23, exec_lo, s23
	s_cbranch_execz .LBB2_556
; %bb.555:                              ;   in Loop: Header=BB2_511 Depth=1
	ds_store_b32 v0, v85
	s_cbranch_execnz .LBB2_1430
.LBB2_556:                              ;   in Loop: Header=BB2_511 Depth=1
	s_or_b32 exec_lo, exec_lo, s12
	;;#ASMSTART
	s_wakeup
	;;#ASMEND
.LBB2_557:                              ;   in Loop: Header=BB2_511 Depth=1
	s_or_b32 exec_lo, exec_lo, s11
.LBB2_558:                              ;   in Loop: Header=BB2_511 Depth=1
	s_and_not1_saveexec_b32 s10, s10
	s_cbranch_execz .LBB2_560
; %bb.559:                              ;   in Loop: Header=BB2_511 Depth=1
	s_waitcnt lgkmcnt(0)
	s_waitcnt_vscnt null, 0x0
	buffer_gl1_inv
	buffer_gl0_inv
	s_barrier
.LBB2_560:                              ;   in Loop: Header=BB2_511 Depth=1
	s_or_b32 exec_lo, exec_lo, s10
.LBB2_561:                              ;   in Loop: Header=BB2_511 Depth=1
	s_delay_alu instid0(SALU_CYCLE_1)
	s_or_b32 exec_lo, exec_lo, s7
	s_cbranch_execnz .LBB2_1233
; %bb.562:                              ;   in Loop: Header=BB2_511 Depth=1
	ds_load_b32 v10, v0
	v_and_b32_e32 v11, 0x4000, v30
	s_delay_alu instid0(VALU_DEP_1) | instskip(SKIP_1) | instid1(SALU_CYCLE_1)
	v_cmp_ne_u32_e32 vcc_lo, 0, v11
	s_and_b32 s10, s20, vcc_lo
	s_and_saveexec_b32 s7, s10
	s_cbranch_execz .LBB2_584
; %bb.563:                              ;   in Loop: Header=BB2_511 Depth=1
	s_and_saveexec_b32 s10, s3
	s_delay_alu instid0(SALU_CYCLE_1)
	s_xor_b32 s10, exec_lo, s10
	s_cbranch_execz .LBB2_581
; %bb.564:                              ;   in Loop: Header=BB2_511 Depth=1
	s_and_saveexec_b32 s11, s4
	s_cbranch_execz .LBB2_580
; %bb.565:                              ;   in Loop: Header=BB2_511 Depth=1
	s_mov_b32 s23, exec_lo
	s_mov_b32 s12, exec_lo
	v_mbcnt_lo_u32_b32 v11, s23, 0
	s_waitcnt lgkmcnt(0)
	s_waitcnt_vscnt null, 0x0
	buffer_gl1_inv
	buffer_gl0_inv
	v_cmpx_eq_u32_e32 0, v11
	s_cbranch_execz .LBB2_567
; %bb.566:                              ;   in Loop: Header=BB2_511 Depth=1
	s_bcnt1_i32_b32 s23, s23
	s_delay_alu instid0(SALU_CYCLE_1)
	v_mov_b32_e32 v32, s23
	ds_add_u64 v0, v[32:33]
	s_cbranch_execnz .LBB2_1340
.LBB2_567:                              ;   in Loop: Header=BB2_511 Depth=1
	s_or_b32 exec_lo, exec_lo, s12
	s_cbranch_execnz .LBB2_1324
; %bb.568:                              ;   in Loop: Header=BB2_511 Depth=1
	ds_load_b64 v[11:12], v0
	v_add_co_u32 v26, vcc_lo, v26, v54
	v_add_co_ci_u32_e32 v27, vcc_lo, 0, v27, vcc_lo
	s_mov_b32 s12, exec_lo
	s_waitcnt lgkmcnt(0)
	s_delay_alu instid0(VALU_DEP_1)
	v_cmpx_lt_u64_e64 v[11:12], v[26:27]
	s_cbranch_execz .LBB2_579
; %bb.569:                              ;   in Loop: Header=BB2_511 Depth=1
	s_mov_b32 s23, 0
	s_mov_b32 s26, 0
                                        ; implicit-def: $sgpr24
                                        ; implicit-def: $sgpr25
	s_branch .LBB2_571
.LBB2_570:                              ;   in Loop: Header=BB2_571 Depth=2
	s_or_b32 exec_lo, exec_lo, s29
	s_delay_alu instid0(SALU_CYCLE_1) | instskip(NEXT) | instid1(SALU_CYCLE_1)
	s_and_b32 s27, exec_lo, s28
	s_or_b32 s23, s27, s23
	s_and_not1_b32 s24, s24, exec_lo
	s_and_b32 s27, s25, exec_lo
	s_delay_alu instid0(SALU_CYCLE_1)
	s_or_b32 s24, s24, s27
	s_and_not1_b32 exec_lo, exec_lo, s23
	s_cbranch_execz .LBB2_577
.LBB2_571:                              ;   Parent Loop BB2_511 Depth=1
                                        ; =>  This Inner Loop Header: Depth=2
	s_add_i32 s26, s26, 1
                                        ; implicit-def: $sgpr28
	s_delay_alu instid0(SALU_CYCLE_1) | instskip(SKIP_1) | instid1(SALU_CYCLE_1)
	s_cmpk_lg_i32 s26, 0x2710
	s_cselect_b32 s27, -1, 0
	s_and_b32 vcc_lo, exec_lo, s27
	s_cbranch_vccz .LBB2_575
.LBB2_572:                              ;   in Loop: Header=BB2_571 Depth=2
	s_and_not1_b32 s25, s25, exec_lo
	s_and_b32 s29, s28, exec_lo
	s_mov_b32 s28, -1
	s_or_b32 s25, s25, s29
	s_and_saveexec_b32 s29, s27
	s_cbranch_execz .LBB2_570
; %bb.573:                              ;   in Loop: Header=BB2_571 Depth=2
	s_sleep 1
	s_cbranch_execnz .LBB2_1384
; %bb.574:                              ;   in Loop: Header=BB2_571 Depth=2
	ds_load_b64 v[11:12], v0
	s_and_not1_b32 s25, s25, exec_lo
	s_waitcnt lgkmcnt(0)
	v_cmp_ge_u64_e32 vcc_lo, v[11:12], v[26:27]
	s_or_not1_b32 s28, vcc_lo, exec_lo
	s_branch .LBB2_570
.LBB2_575:                              ;   in Loop: Header=BB2_571 Depth=2
	s_cbranch_execnz .LBB2_1398
; %bb.576:                              ;   in Loop: Header=BB2_571 Depth=2
	ds_load_b64 v[11:12], v0
	s_and_not1_b32 s27, s27, exec_lo
	s_mov_b32 s26, 0
	s_mov_b32 s28, -1
	s_waitcnt lgkmcnt(0)
	flat_load_b32 v11, v[11:12] glc
	s_waitcnt vmcnt(0) lgkmcnt(0)
	buffer_gl1_inv
	buffer_gl0_inv
	v_cmp_eq_u32_e32 vcc_lo, 0, v11
	s_and_b32 s29, vcc_lo, exec_lo
	s_delay_alu instid0(SALU_CYCLE_1)
	s_or_b32 s27, s27, s29
	s_branch .LBB2_572
.LBB2_577:                              ;   in Loop: Header=BB2_511 Depth=1
	s_or_b32 exec_lo, exec_lo, s23
	s_and_saveexec_b32 s23, s24
	s_delay_alu instid0(SALU_CYCLE_1)
	s_xor_b32 s23, exec_lo, s23
	s_cbranch_execz .LBB2_579
; %bb.578:                              ;   in Loop: Header=BB2_511 Depth=1
	ds_store_b32 v0, v85
	s_cbranch_execnz .LBB2_1440
.LBB2_579:                              ;   in Loop: Header=BB2_511 Depth=1
	s_or_b32 exec_lo, exec_lo, s12
	;;#ASMSTART
	s_wakeup
	;;#ASMEND
.LBB2_580:                              ;   in Loop: Header=BB2_511 Depth=1
	s_or_b32 exec_lo, exec_lo, s11
.LBB2_581:                              ;   in Loop: Header=BB2_511 Depth=1
	s_and_not1_saveexec_b32 s10, s10
	s_cbranch_execz .LBB2_583
; %bb.582:                              ;   in Loop: Header=BB2_511 Depth=1
	s_waitcnt lgkmcnt(0)
	s_waitcnt_vscnt null, 0x0
	buffer_gl1_inv
	buffer_gl0_inv
	s_barrier
.LBB2_583:                              ;   in Loop: Header=BB2_511 Depth=1
	s_or_b32 exec_lo, exec_lo, s10
.LBB2_584:                              ;   in Loop: Header=BB2_511 Depth=1
	s_delay_alu instid0(SALU_CYCLE_1)
	s_or_b32 exec_lo, exec_lo, s7
	s_cbranch_execnz .LBB2_1266
; %bb.585:                              ;   in Loop: Header=BB2_511 Depth=1
	ds_load_b64 v[11:12], v0
	v_min_u32_e32 v39, v39, v38
	s_waitcnt lgkmcnt(0)
	v_cmp_eq_u64_e32 vcc_lo, 0, v[11:12]
	s_or_b32 s7, vcc_lo, vcc_lo
	s_delay_alu instid0(SALU_CYCLE_1)
	s_and_b32 vcc_lo, exec_lo, s7
	s_mov_b32 s7, 0
	s_cbranch_vccnz .LBB2_870
; %bb.586:                              ;   in Loop: Header=BB2_511 Depth=1
	s_cbranch_execnz .LBB2_1292
; %bb.587:                              ;   in Loop: Header=BB2_511 Depth=1
	ds_load_b64 v[11:12], v0
	s_mov_b32 s7, -1
	s_waitcnt lgkmcnt(0)
	v_readfirstlane_b32 s23, v11
	s_and_saveexec_b32 s10, s5
	s_cbranch_execz .LBB2_589
; %bb.588:                              ;   in Loop: Header=BB2_511 Depth=1
	ds_load_b32 v11, v0 offset:720
	s_waitcnt lgkmcnt(0)
	v_and_b32_e32 v11, 15, v11
	s_delay_alu instid0(VALU_DEP_1)
	v_cmp_eq_u32_e32 vcc_lo, 0, v11
	s_or_not1_b32 s7, vcc_lo, exec_lo
.LBB2_589:                              ;   in Loop: Header=BB2_511 Depth=1
	s_or_b32 exec_lo, exec_lo, s10
	s_and_saveexec_b32 s10, s6
	s_cbranch_execz .LBB2_591
; %bb.590:                              ;   in Loop: Header=BB2_511 Depth=1
	ds_load_b32 v11, v0 offset:784
	s_waitcnt lgkmcnt(0)
	v_and_b32_e32 v11, 15, v11
	s_delay_alu instid0(VALU_DEP_1) | instskip(SKIP_3) | instid1(SALU_CYCLE_1)
	v_cmp_eq_u32_e32 vcc_lo, 0, v11
	s_and_b32 s11, s7, vcc_lo
	s_and_not1_b32 s7, s7, exec_lo
	s_and_b32 s11, s11, exec_lo
	s_or_b32 s7, s7, s11
.LBB2_591:                              ;   in Loop: Header=BB2_511 Depth=1
	s_or_b32 exec_lo, exec_lo, s10
	v_cmp_eq_u32_e32 vcc_lo, 0, v10
	s_xor_b32 s7, s7, -1
	v_mov_b32_e32 v16, 0
	v_cndmask_b32_e64 v11, 0, 1, s7
	;;#ASMSTART
	;;#ASMEND
	v_cndmask_b32_e32 v32, 0, v39, vcc_lo
	s_delay_alu instid0(VALU_DEP_2) | instskip(SKIP_1) | instid1(VALU_DEP_2)
	v_cmp_ne_u32_e32 vcc_lo, 0, v11
	s_mov_b32 s10, -1
	v_lshlrev_b32_e32 v86, 1, v32
	s_cbranch_vccz .LBB2_593
; %bb.592:                              ;   in Loop: Header=BB2_511 Depth=1
	v_mov_b32_e32 v17, v0
	s_branch .LBB2_798
.LBB2_593:                              ;   in Loop: Header=BB2_511 Depth=1
	v_lshrrev_b32_e32 v10, 8, v32
	s_delay_alu instid0(VALU_DEP_2) | instskip(SKIP_1) | instid1(VALU_DEP_2)
	v_sub_nc_u32_e32 v96, v86, v55
	s_mov_b32 s24, exec_lo
	v_lshlrev_b32_e32 v87, 9, v10
	s_delay_alu instid0(VALU_DEP_1) | instskip(NEXT) | instid1(VALU_DEP_1)
	v_sub_nc_u32_e32 v97, v86, v87
	v_cmp_lt_i32_e64 s7, 15, v97
	s_delay_alu instid0(VALU_DEP_1)
	v_add_co_ci_u32_e64 v98, vcc_lo, v10, v70, s7
	v_cmpx_lt_i32_e32 15, v96
	s_cbranch_execz .LBB2_694
; %bb.594:                              ;   in Loop: Header=BB2_511 Depth=1
	s_cbranch_execnz .LBB2_1392
; %bb.595:                              ;   in Loop: Header=BB2_511 Depth=1
	ds_load_b128 v[10:13], v0
	ds_load_b64 v[14:15], v0
	s_bitcmp1_b32 s23, 0
	s_mov_b32 s25, 0
	s_cselect_b32 s26, -1, 0
	s_waitcnt lgkmcnt(1)
	v_add_co_u32 v48, vcc_lo, v10, v55
	v_add_co_ci_u32_e32 v49, vcc_lo, v11, v67, vcc_lo
	v_add_co_u32 v50, vcc_lo, v12, v55
	v_add_co_ci_u32_e32 v51, vcc_lo, v13, v67, vcc_lo
	s_waitcnt lgkmcnt(0)
	v_add_co_u32 v52, vcc_lo, v14, v55
	v_add_co_ci_u32_e32 v53, vcc_lo, v15, v67, vcc_lo
	s_branch .LBB2_599
.LBB2_596:                              ;   in Loop: Header=BB2_599 Depth=2
	s_or_b32 exec_lo, exec_lo, s27
	s_delay_alu instid0(VALU_DEP_1)
	v_mov_b32_e32 v102, v100
.LBB2_597:                              ;   in Loop: Header=BB2_599 Depth=2
	s_or_b32 exec_lo, exec_lo, s12
	s_delay_alu instid0(VALU_DEP_1)
	v_mov_b32_e32 v17, v102
.LBB2_598:                              ;   in Loop: Header=BB2_599 Depth=2
	v_lshlrev_b32_e32 v10, 16, v10
	v_and_b32_e32 v13, 0xffff, v99
	v_lshlrev_b32_e32 v16, 16, v16
	v_and_b32_e32 v15, 0xffff, v15
	v_lshlrev_b32_e32 v14, 16, v14
	v_and_b32_e32 v11, 0xffff, v11
	v_or_b32_e32 v10, v10, v13
	v_lshlrev_b32_e32 v13, 16, v17
	v_and_b32_e32 v12, 0xffff, v12
	v_or_b32_e32 v15, v16, v15
	v_add_co_u32 v48, vcc_lo, v48, v71
	v_or3_b32 v11, v14, v11, 0
	v_or3_b32 v10, 0, 0, v10
	;; [unrolled: 1-line block ×4, first 2 shown]
	v_sub_nc_u32_e32 v96, v96, v66
	v_add_co_ci_u32_e32 v49, vcc_lo, v49, v80, vcc_lo
	v_add_co_u32 v50, vcc_lo, v50, v71
	v_add_co_ci_u32_e32 v51, vcc_lo, v51, v80, vcc_lo
	global_store_b128 v[52:53], v[10:13], off glc slc dlc
	v_cmp_gt_i32_e32 vcc_lo, 16, v96
	v_add_co_u32 v52, s10, v52, v71
	s_delay_alu instid0(VALU_DEP_1) | instskip(SKIP_2) | instid1(SALU_CYCLE_1)
	v_add_co_ci_u32_e64 v53, s10, v53, v80, s10
	v_sub_nc_u32_e32 v98, v98, v54
	s_or_b32 s25, vcc_lo, s25
	s_and_not1_b32 exec_lo, exec_lo, s25
	s_cbranch_execz .LBB2_693
.LBB2_599:                              ;   Parent Loop BB2_511 Depth=1
                                        ; =>  This Inner Loop Header: Depth=2
	global_load_b128 v[14:17], v[48:49], off slc dlc
	global_load_b128 v[10:13], v[50:51], off slc dlc
	s_mov_b32 s12, -1
	s_and_b32 vcc_lo, exec_lo, s26
	s_waitcnt vmcnt(1)
	v_and_b32_e32 v99, 0x7fff, v14
	s_waitcnt vmcnt(0)
	v_and_b32_e32 v100, 0x7fff, v10
	v_perm_b32 v101, v10, v14, 0x5040100
	s_delay_alu instid0(VALU_DEP_3) | instskip(NEXT) | instid1(VALU_DEP_3)
	v_cmp_lt_u16_e64 s10, 0x7c00, v99
	v_cmp_gt_u16_e64 s11, 0x7c01, v100
                                        ; implicit-def: $vgpr99
	s_delay_alu instid0(VALU_DEP_1) | instskip(NEXT) | instid1(SALU_CYCLE_1)
	s_and_b32 s27, s10, s11
	s_xor_b32 s27, s27, -1
	s_cbranch_vccz .LBB2_605
; %bb.600:                              ;   in Loop: Header=BB2_599 Depth=2
	v_mov_b32_e32 v99, v10
	s_and_saveexec_b32 s28, s27
	s_cbranch_execz .LBB2_604
; %bb.601:                              ;   in Loop: Header=BB2_599 Depth=2
	v_mov_b32_e32 v99, v14
	s_or_b32 s12, s10, s11
	s_delay_alu instid0(SALU_CYCLE_1)
	s_and_saveexec_b32 s29, s12
; %bb.602:                              ;   in Loop: Header=BB2_599 Depth=2
	v_lshrrev_b32_e32 v99, 16, v101
	v_cmp_lt_u16_e32 vcc_lo, 0x7c00, v100
	s_delay_alu instid0(VALU_DEP_2) | instskip(NEXT) | instid1(VALU_DEP_1)
	v_cmp_gt_f16_e64 s12, v101, v99
	v_cndmask_b32_e64 v99, v99, v101, s12
	s_and_b32 s12, s10, vcc_lo
	s_delay_alu instid0(VALU_DEP_1) | instid1(SALU_CYCLE_1)
	v_cndmask_b32_e64 v99, v99, 0x7fff, s12
; %bb.603:                              ;   in Loop: Header=BB2_599 Depth=2
	s_or_b32 exec_lo, exec_lo, s29
.LBB2_604:                              ;   in Loop: Header=BB2_599 Depth=2
	s_delay_alu instid0(SALU_CYCLE_1)
	s_or_b32 exec_lo, exec_lo, s28
	s_mov_b32 s12, 0
.LBB2_605:                              ;   in Loop: Header=BB2_599 Depth=2
	s_delay_alu instid0(SALU_CYCLE_1)
	s_and_not1_b32 vcc_lo, exec_lo, s12
	s_cbranch_vccnz .LBB2_611
; %bb.606:                              ;   in Loop: Header=BB2_599 Depth=2
	v_mov_b32_e32 v99, v10
	s_and_saveexec_b32 s12, s27
	s_cbranch_execz .LBB2_610
; %bb.607:                              ;   in Loop: Header=BB2_599 Depth=2
	v_mov_b32_e32 v99, v14
	s_or_b32 s11, s10, s11
	s_delay_alu instid0(SALU_CYCLE_1)
	s_and_saveexec_b32 s27, s11
; %bb.608:                              ;   in Loop: Header=BB2_599 Depth=2
	v_lshrrev_b32_e32 v99, 16, v101
	v_cmp_lt_u16_e32 vcc_lo, 0x7c00, v100
	s_delay_alu instid0(VALU_DEP_2) | instskip(SKIP_1) | instid1(VALU_DEP_1)
	v_cmp_gt_f16_e64 s11, v101, v99
	s_and_b32 s10, s10, vcc_lo
	v_cndmask_b32_e64 v99, v101, v99, s11
	s_delay_alu instid0(VALU_DEP_1)
	v_cndmask_b32_e64 v99, v99, 0x7fff, s10
; %bb.609:                              ;   in Loop: Header=BB2_599 Depth=2
	s_or_b32 exec_lo, exec_lo, s27
.LBB2_610:                              ;   in Loop: Header=BB2_599 Depth=2
	s_delay_alu instid0(SALU_CYCLE_1)
	s_or_b32 exec_lo, exec_lo, s12
.LBB2_611:                              ;   in Loop: Header=BB2_599 Depth=2
	v_mov_b32_e32 v103, v14
	v_mov_b32_e32 v112, v10
	;; [unrolled: 1-line block ×4, first 2 shown]
	s_mov_b32 s12, -1
	v_lshrrev_b32_e32 v100, 16, v103
	v_lshrrev_b32_e32 v102, 16, v112
	s_and_b32 vcc_lo, exec_lo, s26
	s_delay_alu instid0(VALU_DEP_2) | instskip(NEXT) | instid1(VALU_DEP_2)
	v_and_b32_e32 v10, 0x7fff, v100
	v_and_b32_e32 v101, 0x7fff, v102
	v_perm_b32 v11, v112, v103, 0x7060302
	s_delay_alu instid0(VALU_DEP_3) | instskip(NEXT) | instid1(VALU_DEP_3)
	v_cmp_lt_u16_e64 s10, 0x7c00, v10
	v_cmp_gt_u16_e64 s11, 0x7c01, v101
                                        ; implicit-def: $vgpr10
	s_delay_alu instid0(VALU_DEP_1) | instskip(NEXT) | instid1(SALU_CYCLE_1)
	s_and_b32 s27, s10, s11
	s_xor_b32 s27, s27, -1
	s_cbranch_vccz .LBB2_617
; %bb.612:                              ;   in Loop: Header=BB2_599 Depth=2
	v_mov_b32_e32 v10, v102
	s_and_saveexec_b32 s28, s27
	s_cbranch_execz .LBB2_616
; %bb.613:                              ;   in Loop: Header=BB2_599 Depth=2
	v_mov_b32_e32 v10, v100
	s_or_b32 s12, s10, s11
	s_delay_alu instid0(SALU_CYCLE_1)
	s_and_saveexec_b32 s29, s12
; %bb.614:                              ;   in Loop: Header=BB2_599 Depth=2
	v_lshrrev_b32_e32 v10, 16, v11
	v_cmp_lt_u16_e32 vcc_lo, 0x7c00, v101
	s_delay_alu instid0(VALU_DEP_2) | instskip(NEXT) | instid1(VALU_DEP_1)
	v_cmp_gt_f16_e64 s12, v11, v10
	v_cndmask_b32_e64 v10, v10, v11, s12
	s_and_b32 s12, s10, vcc_lo
	s_delay_alu instid0(VALU_DEP_1) | instid1(SALU_CYCLE_1)
	v_cndmask_b32_e64 v10, v10, 0x7fff, s12
; %bb.615:                              ;   in Loop: Header=BB2_599 Depth=2
	s_or_b32 exec_lo, exec_lo, s29
.LBB2_616:                              ;   in Loop: Header=BB2_599 Depth=2
	s_delay_alu instid0(SALU_CYCLE_1)
	s_or_b32 exec_lo, exec_lo, s28
	s_mov_b32 s12, 0
.LBB2_617:                              ;   in Loop: Header=BB2_599 Depth=2
	s_delay_alu instid0(SALU_CYCLE_1)
	s_and_not1_b32 vcc_lo, exec_lo, s12
	s_cbranch_vccnz .LBB2_623
; %bb.618:                              ;   in Loop: Header=BB2_599 Depth=2
	s_and_saveexec_b32 s12, s27
	s_cbranch_execz .LBB2_622
; %bb.619:                              ;   in Loop: Header=BB2_599 Depth=2
	s_or_b32 s11, s10, s11
	s_delay_alu instid0(SALU_CYCLE_1)
	s_and_saveexec_b32 s27, s11
; %bb.620:                              ;   in Loop: Header=BB2_599 Depth=2
	v_lshrrev_b32_e32 v10, 16, v11
	v_cmp_lt_u16_e32 vcc_lo, 0x7c00, v101
	s_delay_alu instid0(VALU_DEP_2) | instskip(SKIP_1) | instid1(VALU_DEP_1)
	v_cmp_gt_f16_e64 s11, v11, v10
	s_and_b32 s10, s10, vcc_lo
	v_cndmask_b32_e64 v10, v11, v10, s11
	s_delay_alu instid0(VALU_DEP_1)
	v_cndmask_b32_e64 v100, v10, 0x7fff, s10
; %bb.621:                              ;   in Loop: Header=BB2_599 Depth=2
	s_or_b32 exec_lo, exec_lo, s27
	s_delay_alu instid0(VALU_DEP_1)
	v_mov_b32_e32 v102, v100
.LBB2_622:                              ;   in Loop: Header=BB2_599 Depth=2
	s_or_b32 exec_lo, exec_lo, s12
	s_delay_alu instid0(VALU_DEP_1)
	v_mov_b32_e32 v10, v102
.LBB2_623:                              ;   in Loop: Header=BB2_599 Depth=2
	v_and_b32_e32 v11, 0x7fff, v14
	v_and_b32_e32 v100, 0x7fff, v15
	v_perm_b32 v101, v15, v14, 0x5040100
	s_mov_b32 s12, -1
	s_and_b32 vcc_lo, exec_lo, s26
	v_cmp_lt_u16_e64 s10, 0x7c00, v11
	v_cmp_gt_u16_e64 s11, 0x7c01, v100
                                        ; implicit-def: $vgpr11
	s_delay_alu instid0(VALU_DEP_1) | instskip(NEXT) | instid1(SALU_CYCLE_1)
	s_and_b32 s27, s10, s11
	s_xor_b32 s27, s27, -1
	s_cbranch_vccz .LBB2_629
; %bb.624:                              ;   in Loop: Header=BB2_599 Depth=2
	v_mov_b32_e32 v11, v15
	s_and_saveexec_b32 s28, s27
	s_cbranch_execz .LBB2_628
; %bb.625:                              ;   in Loop: Header=BB2_599 Depth=2
	v_mov_b32_e32 v11, v14
	s_or_b32 s12, s10, s11
	s_delay_alu instid0(SALU_CYCLE_1)
	s_and_saveexec_b32 s29, s12
; %bb.626:                              ;   in Loop: Header=BB2_599 Depth=2
	v_lshrrev_b32_e32 v11, 16, v101
	v_cmp_lt_u16_e32 vcc_lo, 0x7c00, v100
	s_delay_alu instid0(VALU_DEP_2) | instskip(NEXT) | instid1(VALU_DEP_1)
	v_cmp_gt_f16_e64 s12, v101, v11
	v_cndmask_b32_e64 v11, v11, v101, s12
	s_and_b32 s12, s10, vcc_lo
	s_delay_alu instid0(VALU_DEP_1) | instid1(SALU_CYCLE_1)
	v_cndmask_b32_e64 v11, v11, 0x7fff, s12
; %bb.627:                              ;   in Loop: Header=BB2_599 Depth=2
	s_or_b32 exec_lo, exec_lo, s29
.LBB2_628:                              ;   in Loop: Header=BB2_599 Depth=2
	s_delay_alu instid0(SALU_CYCLE_1)
	s_or_b32 exec_lo, exec_lo, s28
	s_mov_b32 s12, 0
.LBB2_629:                              ;   in Loop: Header=BB2_599 Depth=2
	s_delay_alu instid0(SALU_CYCLE_1)
	s_and_not1_b32 vcc_lo, exec_lo, s12
	s_cbranch_vccnz .LBB2_635
; %bb.630:                              ;   in Loop: Header=BB2_599 Depth=2
	v_mov_b32_e32 v11, v15
	s_and_saveexec_b32 s12, s27
	s_cbranch_execz .LBB2_634
; %bb.631:                              ;   in Loop: Header=BB2_599 Depth=2
	v_mov_b32_e32 v11, v14
	s_or_b32 s11, s10, s11
	s_delay_alu instid0(SALU_CYCLE_1)
	s_and_saveexec_b32 s27, s11
; %bb.632:                              ;   in Loop: Header=BB2_599 Depth=2
	v_lshrrev_b32_e32 v11, 16, v101
	v_cmp_lt_u16_e32 vcc_lo, 0x7c00, v100
	s_delay_alu instid0(VALU_DEP_2) | instskip(SKIP_1) | instid1(VALU_DEP_1)
	v_cmp_gt_f16_e64 s11, v101, v11
	s_and_b32 s10, s10, vcc_lo
	v_cndmask_b32_e64 v11, v101, v11, s11
	s_delay_alu instid0(VALU_DEP_1)
	v_cndmask_b32_e64 v11, v11, 0x7fff, s10
; %bb.633:                              ;   in Loop: Header=BB2_599 Depth=2
	s_or_b32 exec_lo, exec_lo, s27
.LBB2_634:                              ;   in Loop: Header=BB2_599 Depth=2
	s_delay_alu instid0(SALU_CYCLE_1)
	s_or_b32 exec_lo, exec_lo, s12
.LBB2_635:                              ;   in Loop: Header=BB2_599 Depth=2
	v_lshrrev_b32_e32 v100, 16, v14
	v_lshrrev_b32_e32 v102, 16, v15
	v_perm_b32 v15, v15, v14, 0x7060302
	s_mov_b32 s12, -1
	s_and_b32 vcc_lo, exec_lo, s26
	v_and_b32_e32 v103, 0x7fff, v100
	v_and_b32_e32 v101, 0x7fff, v102
                                        ; implicit-def: $vgpr14
	s_delay_alu instid0(VALU_DEP_2) | instskip(NEXT) | instid1(VALU_DEP_2)
	v_cmp_lt_u16_e64 s10, 0x7c00, v103
	v_cmp_gt_u16_e64 s11, 0x7c01, v101
	s_delay_alu instid0(VALU_DEP_1) | instskip(NEXT) | instid1(SALU_CYCLE_1)
	s_and_b32 s27, s10, s11
	s_xor_b32 s27, s27, -1
	s_cbranch_vccz .LBB2_641
; %bb.636:                              ;   in Loop: Header=BB2_599 Depth=2
	v_mov_b32_e32 v14, v102
	s_and_saveexec_b32 s28, s27
	s_cbranch_execz .LBB2_640
; %bb.637:                              ;   in Loop: Header=BB2_599 Depth=2
	v_mov_b32_e32 v14, v100
	s_or_b32 s12, s10, s11
	s_delay_alu instid0(SALU_CYCLE_1)
	s_and_saveexec_b32 s29, s12
; %bb.638:                              ;   in Loop: Header=BB2_599 Depth=2
	v_lshrrev_b32_e32 v14, 16, v15
	v_cmp_lt_u16_e32 vcc_lo, 0x7c00, v101
	s_delay_alu instid0(VALU_DEP_2) | instskip(NEXT) | instid1(VALU_DEP_1)
	v_cmp_gt_f16_e64 s12, v15, v14
	v_cndmask_b32_e64 v14, v14, v15, s12
	s_and_b32 s12, s10, vcc_lo
	s_delay_alu instid0(VALU_DEP_1) | instid1(SALU_CYCLE_1)
	v_cndmask_b32_e64 v14, v14, 0x7fff, s12
; %bb.639:                              ;   in Loop: Header=BB2_599 Depth=2
	s_or_b32 exec_lo, exec_lo, s29
.LBB2_640:                              ;   in Loop: Header=BB2_599 Depth=2
	s_delay_alu instid0(SALU_CYCLE_1)
	s_or_b32 exec_lo, exec_lo, s28
	s_mov_b32 s12, 0
.LBB2_641:                              ;   in Loop: Header=BB2_599 Depth=2
	s_delay_alu instid0(SALU_CYCLE_1)
	s_and_not1_b32 vcc_lo, exec_lo, s12
	s_cbranch_vccnz .LBB2_647
; %bb.642:                              ;   in Loop: Header=BB2_599 Depth=2
	s_and_saveexec_b32 s12, s27
	s_cbranch_execz .LBB2_646
; %bb.643:                              ;   in Loop: Header=BB2_599 Depth=2
	s_or_b32 s11, s10, s11
	s_delay_alu instid0(SALU_CYCLE_1)
	s_and_saveexec_b32 s27, s11
; %bb.644:                              ;   in Loop: Header=BB2_599 Depth=2
	v_lshrrev_b32_e32 v14, 16, v15
	v_cmp_lt_u16_e32 vcc_lo, 0x7c00, v101
	s_delay_alu instid0(VALU_DEP_2) | instskip(SKIP_1) | instid1(VALU_DEP_1)
	v_cmp_gt_f16_e64 s11, v15, v14
	s_and_b32 s10, s10, vcc_lo
	v_cndmask_b32_e64 v14, v15, v14, s11
	s_delay_alu instid0(VALU_DEP_1)
	v_cndmask_b32_e64 v100, v14, 0x7fff, s10
; %bb.645:                              ;   in Loop: Header=BB2_599 Depth=2
	s_or_b32 exec_lo, exec_lo, s27
	s_delay_alu instid0(VALU_DEP_1)
	v_mov_b32_e32 v102, v100
.LBB2_646:                              ;   in Loop: Header=BB2_599 Depth=2
	s_or_b32 exec_lo, exec_lo, s12
	s_delay_alu instid0(VALU_DEP_1)
	v_mov_b32_e32 v14, v102
.LBB2_647:                              ;   in Loop: Header=BB2_599 Depth=2
	v_and_b32_e32 v15, 0x7fff, v16
	v_and_b32_e32 v100, 0x7fff, v12
	v_perm_b32 v101, v12, v16, 0x5040100
	s_mov_b32 s12, -1
	s_and_b32 vcc_lo, exec_lo, s26
	v_cmp_lt_u16_e64 s10, 0x7c00, v15
	v_cmp_gt_u16_e64 s11, 0x7c01, v100
                                        ; implicit-def: $vgpr15
	s_delay_alu instid0(VALU_DEP_1) | instskip(NEXT) | instid1(SALU_CYCLE_1)
	s_and_b32 s27, s10, s11
	s_xor_b32 s27, s27, -1
	s_cbranch_vccz .LBB2_653
; %bb.648:                              ;   in Loop: Header=BB2_599 Depth=2
	v_mov_b32_e32 v15, v12
	s_and_saveexec_b32 s28, s27
	s_cbranch_execz .LBB2_652
; %bb.649:                              ;   in Loop: Header=BB2_599 Depth=2
	v_mov_b32_e32 v15, v16
	s_or_b32 s12, s10, s11
	s_delay_alu instid0(SALU_CYCLE_1)
	s_and_saveexec_b32 s29, s12
; %bb.650:                              ;   in Loop: Header=BB2_599 Depth=2
	v_lshrrev_b32_e32 v15, 16, v101
	v_cmp_lt_u16_e32 vcc_lo, 0x7c00, v100
	s_delay_alu instid0(VALU_DEP_2) | instskip(NEXT) | instid1(VALU_DEP_1)
	v_cmp_gt_f16_e64 s12, v101, v15
	v_cndmask_b32_e64 v15, v15, v101, s12
	s_and_b32 s12, s10, vcc_lo
	s_delay_alu instid0(VALU_DEP_1) | instid1(SALU_CYCLE_1)
	v_cndmask_b32_e64 v15, v15, 0x7fff, s12
; %bb.651:                              ;   in Loop: Header=BB2_599 Depth=2
	s_or_b32 exec_lo, exec_lo, s29
.LBB2_652:                              ;   in Loop: Header=BB2_599 Depth=2
	s_delay_alu instid0(SALU_CYCLE_1)
	s_or_b32 exec_lo, exec_lo, s28
	s_mov_b32 s12, 0
.LBB2_653:                              ;   in Loop: Header=BB2_599 Depth=2
	s_delay_alu instid0(SALU_CYCLE_1)
	s_and_not1_b32 vcc_lo, exec_lo, s12
	s_cbranch_vccnz .LBB2_659
; %bb.654:                              ;   in Loop: Header=BB2_599 Depth=2
	v_mov_b32_e32 v15, v12
	s_and_saveexec_b32 s12, s27
	s_cbranch_execz .LBB2_658
; %bb.655:                              ;   in Loop: Header=BB2_599 Depth=2
	v_mov_b32_e32 v15, v16
	s_or_b32 s11, s10, s11
	s_delay_alu instid0(SALU_CYCLE_1)
	s_and_saveexec_b32 s27, s11
; %bb.656:                              ;   in Loop: Header=BB2_599 Depth=2
	v_lshrrev_b32_e32 v15, 16, v101
	v_cmp_lt_u16_e32 vcc_lo, 0x7c00, v100
	s_delay_alu instid0(VALU_DEP_2) | instskip(SKIP_1) | instid1(VALU_DEP_1)
	v_cmp_gt_f16_e64 s11, v101, v15
	s_and_b32 s10, s10, vcc_lo
	v_cndmask_b32_e64 v15, v101, v15, s11
	s_delay_alu instid0(VALU_DEP_1)
	v_cndmask_b32_e64 v15, v15, 0x7fff, s10
; %bb.657:                              ;   in Loop: Header=BB2_599 Depth=2
	s_or_b32 exec_lo, exec_lo, s27
.LBB2_658:                              ;   in Loop: Header=BB2_599 Depth=2
	s_delay_alu instid0(SALU_CYCLE_1)
	s_or_b32 exec_lo, exec_lo, s12
.LBB2_659:                              ;   in Loop: Header=BB2_599 Depth=2
	v_mov_b32_e32 v103, v16
	v_lshrrev_b32_e32 v102, 16, v12
	s_mov_b32 s12, -1
	s_and_b32 vcc_lo, exec_lo, s26
	s_delay_alu instid0(VALU_DEP_2) | instskip(NEXT) | instid1(VALU_DEP_2)
	v_lshrrev_b32_e32 v100, 16, v103
	v_and_b32_e32 v101, 0x7fff, v102
	s_delay_alu instid0(VALU_DEP_2) | instskip(NEXT) | instid1(VALU_DEP_2)
	v_and_b32_e32 v16, 0x7fff, v100
	v_cmp_gt_u16_e64 s11, 0x7c01, v101
	v_perm_b32 v12, v12, v103, 0x7060302
	s_delay_alu instid0(VALU_DEP_3) | instskip(NEXT) | instid1(VALU_DEP_1)
	v_cmp_lt_u16_e64 s10, 0x7c00, v16
                                        ; implicit-def: $vgpr16
	s_and_b32 s27, s10, s11
	s_delay_alu instid0(SALU_CYCLE_1)
	s_xor_b32 s27, s27, -1
	s_cbranch_vccz .LBB2_665
; %bb.660:                              ;   in Loop: Header=BB2_599 Depth=2
	v_mov_b32_e32 v16, v102
	s_and_saveexec_b32 s28, s27
	s_cbranch_execz .LBB2_664
; %bb.661:                              ;   in Loop: Header=BB2_599 Depth=2
	v_mov_b32_e32 v16, v100
	s_or_b32 s12, s10, s11
	s_delay_alu instid0(SALU_CYCLE_1)
	s_and_saveexec_b32 s29, s12
; %bb.662:                              ;   in Loop: Header=BB2_599 Depth=2
	v_lshrrev_b32_e32 v16, 16, v12
	v_cmp_lt_u16_e32 vcc_lo, 0x7c00, v101
	s_delay_alu instid0(VALU_DEP_2) | instskip(NEXT) | instid1(VALU_DEP_1)
	v_cmp_gt_f16_e64 s12, v12, v16
	v_cndmask_b32_e64 v16, v16, v12, s12
	s_and_b32 s12, s10, vcc_lo
	s_delay_alu instid0(VALU_DEP_1) | instid1(SALU_CYCLE_1)
	v_cndmask_b32_e64 v16, v16, 0x7fff, s12
; %bb.663:                              ;   in Loop: Header=BB2_599 Depth=2
	s_or_b32 exec_lo, exec_lo, s29
.LBB2_664:                              ;   in Loop: Header=BB2_599 Depth=2
	s_delay_alu instid0(SALU_CYCLE_1)
	s_or_b32 exec_lo, exec_lo, s28
	s_mov_b32 s12, 0
.LBB2_665:                              ;   in Loop: Header=BB2_599 Depth=2
	s_delay_alu instid0(SALU_CYCLE_1)
	s_and_not1_b32 vcc_lo, exec_lo, s12
	s_cbranch_vccnz .LBB2_671
; %bb.666:                              ;   in Loop: Header=BB2_599 Depth=2
	s_and_saveexec_b32 s12, s27
	s_cbranch_execz .LBB2_670
; %bb.667:                              ;   in Loop: Header=BB2_599 Depth=2
	s_or_b32 s11, s10, s11
	s_delay_alu instid0(SALU_CYCLE_1)
	s_and_saveexec_b32 s27, s11
; %bb.668:                              ;   in Loop: Header=BB2_599 Depth=2
	v_lshrrev_b32_e32 v16, 16, v12
	v_cmp_lt_u16_e32 vcc_lo, 0x7c00, v101
	s_delay_alu instid0(VALU_DEP_2) | instskip(SKIP_1) | instid1(VALU_DEP_1)
	v_cmp_gt_f16_e64 s11, v12, v16
	s_and_b32 s10, s10, vcc_lo
	v_cndmask_b32_e64 v12, v12, v16, s11
	s_delay_alu instid0(VALU_DEP_1)
	v_cndmask_b32_e64 v100, v12, 0x7fff, s10
; %bb.669:                              ;   in Loop: Header=BB2_599 Depth=2
	s_or_b32 exec_lo, exec_lo, s27
	s_delay_alu instid0(VALU_DEP_1)
	v_mov_b32_e32 v102, v100
.LBB2_670:                              ;   in Loop: Header=BB2_599 Depth=2
	s_or_b32 exec_lo, exec_lo, s12
	s_delay_alu instid0(VALU_DEP_1)
	v_mov_b32_e32 v16, v102
.LBB2_671:                              ;   in Loop: Header=BB2_599 Depth=2
	v_and_b32_e32 v12, 0x7fff, v17
	v_and_b32_e32 v100, 0x7fff, v13
	v_perm_b32 v101, v13, v17, 0x5040100
	s_mov_b32 s12, -1
	s_and_b32 vcc_lo, exec_lo, s26
	v_cmp_lt_u16_e64 s10, 0x7c00, v12
	v_cmp_gt_u16_e64 s11, 0x7c01, v100
                                        ; implicit-def: $vgpr12
	s_delay_alu instid0(VALU_DEP_1) | instskip(NEXT) | instid1(SALU_CYCLE_1)
	s_and_b32 s27, s10, s11
	s_xor_b32 s27, s27, -1
	s_cbranch_vccz .LBB2_677
; %bb.672:                              ;   in Loop: Header=BB2_599 Depth=2
	v_mov_b32_e32 v12, v13
	s_and_saveexec_b32 s28, s27
	s_cbranch_execz .LBB2_676
; %bb.673:                              ;   in Loop: Header=BB2_599 Depth=2
	v_mov_b32_e32 v12, v17
	s_or_b32 s12, s10, s11
	s_delay_alu instid0(SALU_CYCLE_1)
	s_and_saveexec_b32 s29, s12
; %bb.674:                              ;   in Loop: Header=BB2_599 Depth=2
	v_lshrrev_b32_e32 v12, 16, v101
	v_cmp_lt_u16_e32 vcc_lo, 0x7c00, v100
	s_delay_alu instid0(VALU_DEP_2) | instskip(NEXT) | instid1(VALU_DEP_1)
	v_cmp_gt_f16_e64 s12, v101, v12
	v_cndmask_b32_e64 v12, v12, v101, s12
	s_and_b32 s12, s10, vcc_lo
	s_delay_alu instid0(VALU_DEP_1) | instid1(SALU_CYCLE_1)
	v_cndmask_b32_e64 v12, v12, 0x7fff, s12
; %bb.675:                              ;   in Loop: Header=BB2_599 Depth=2
	s_or_b32 exec_lo, exec_lo, s29
.LBB2_676:                              ;   in Loop: Header=BB2_599 Depth=2
	s_delay_alu instid0(SALU_CYCLE_1)
	s_or_b32 exec_lo, exec_lo, s28
	s_mov_b32 s12, 0
.LBB2_677:                              ;   in Loop: Header=BB2_599 Depth=2
	s_delay_alu instid0(SALU_CYCLE_1)
	s_and_not1_b32 vcc_lo, exec_lo, s12
	s_cbranch_vccnz .LBB2_683
; %bb.678:                              ;   in Loop: Header=BB2_599 Depth=2
	v_mov_b32_e32 v12, v13
	s_and_saveexec_b32 s12, s27
	s_cbranch_execz .LBB2_682
; %bb.679:                              ;   in Loop: Header=BB2_599 Depth=2
	v_mov_b32_e32 v12, v17
	s_or_b32 s11, s10, s11
	s_delay_alu instid0(SALU_CYCLE_1)
	s_and_saveexec_b32 s27, s11
; %bb.680:                              ;   in Loop: Header=BB2_599 Depth=2
	v_lshrrev_b32_e32 v12, 16, v101
	v_cmp_lt_u16_e32 vcc_lo, 0x7c00, v100
	s_delay_alu instid0(VALU_DEP_2) | instskip(SKIP_1) | instid1(VALU_DEP_1)
	v_cmp_gt_f16_e64 s11, v101, v12
	s_and_b32 s10, s10, vcc_lo
	v_cndmask_b32_e64 v12, v101, v12, s11
	s_delay_alu instid0(VALU_DEP_1)
	v_cndmask_b32_e64 v12, v12, 0x7fff, s10
; %bb.681:                              ;   in Loop: Header=BB2_599 Depth=2
	s_or_b32 exec_lo, exec_lo, s27
.LBB2_682:                              ;   in Loop: Header=BB2_599 Depth=2
	s_delay_alu instid0(SALU_CYCLE_1)
	s_or_b32 exec_lo, exec_lo, s12
.LBB2_683:                              ;   in Loop: Header=BB2_599 Depth=2
	v_lshrrev_b32_e32 v100, 16, v17
	v_lshrrev_b32_e32 v102, 16, v13
	v_perm_b32 v13, v13, v17, 0x7060302
	s_mov_b32 s12, -1
	s_and_b32 vcc_lo, exec_lo, s26
	v_and_b32_e32 v103, 0x7fff, v100
	v_and_b32_e32 v101, 0x7fff, v102
                                        ; implicit-def: $vgpr17
	s_delay_alu instid0(VALU_DEP_2) | instskip(NEXT) | instid1(VALU_DEP_2)
	v_cmp_lt_u16_e64 s10, 0x7c00, v103
	v_cmp_gt_u16_e64 s11, 0x7c01, v101
	s_delay_alu instid0(VALU_DEP_1) | instskip(NEXT) | instid1(SALU_CYCLE_1)
	s_and_b32 s27, s10, s11
	s_xor_b32 s27, s27, -1
	s_cbranch_vccz .LBB2_689
; %bb.684:                              ;   in Loop: Header=BB2_599 Depth=2
	v_mov_b32_e32 v17, v102
	s_and_saveexec_b32 s28, s27
	s_cbranch_execz .LBB2_688
; %bb.685:                              ;   in Loop: Header=BB2_599 Depth=2
	v_mov_b32_e32 v17, v100
	s_or_b32 s12, s10, s11
	s_delay_alu instid0(SALU_CYCLE_1)
	s_and_saveexec_b32 s29, s12
; %bb.686:                              ;   in Loop: Header=BB2_599 Depth=2
	v_lshrrev_b32_e32 v17, 16, v13
	v_cmp_lt_u16_e32 vcc_lo, 0x7c00, v101
	s_delay_alu instid0(VALU_DEP_2) | instskip(NEXT) | instid1(VALU_DEP_1)
	v_cmp_gt_f16_e64 s12, v13, v17
	v_cndmask_b32_e64 v17, v17, v13, s12
	s_and_b32 s12, s10, vcc_lo
	s_delay_alu instid0(VALU_DEP_1) | instid1(SALU_CYCLE_1)
	v_cndmask_b32_e64 v17, v17, 0x7fff, s12
; %bb.687:                              ;   in Loop: Header=BB2_599 Depth=2
	s_or_b32 exec_lo, exec_lo, s29
.LBB2_688:                              ;   in Loop: Header=BB2_599 Depth=2
	s_delay_alu instid0(SALU_CYCLE_1)
	s_or_b32 exec_lo, exec_lo, s28
	s_mov_b32 s12, 0
.LBB2_689:                              ;   in Loop: Header=BB2_599 Depth=2
	s_delay_alu instid0(SALU_CYCLE_1)
	s_and_not1_b32 vcc_lo, exec_lo, s12
	s_cbranch_vccnz .LBB2_598
; %bb.690:                              ;   in Loop: Header=BB2_599 Depth=2
	s_and_saveexec_b32 s12, s27
	s_cbranch_execz .LBB2_597
; %bb.691:                              ;   in Loop: Header=BB2_599 Depth=2
	s_or_b32 s11, s10, s11
	s_delay_alu instid0(SALU_CYCLE_1)
	s_and_saveexec_b32 s27, s11
	s_cbranch_execz .LBB2_596
; %bb.692:                              ;   in Loop: Header=BB2_599 Depth=2
	v_lshrrev_b32_e32 v17, 16, v13
	v_cmp_lt_u16_e32 vcc_lo, 0x7c00, v101
	s_delay_alu instid0(VALU_DEP_2) | instskip(SKIP_1) | instid1(VALU_DEP_1)
	v_cmp_gt_f16_e64 s11, v13, v17
	s_and_b32 s10, s10, vcc_lo
	v_cndmask_b32_e64 v13, v13, v17, s11
	s_delay_alu instid0(VALU_DEP_1)
	v_cndmask_b32_e64 v100, v13, 0x7fff, s10
	s_branch .LBB2_596
.LBB2_693:                              ;   in Loop: Header=BB2_511 Depth=1
	s_or_b32 exec_lo, exec_lo, s25
.LBB2_694:                              ;   in Loop: Header=BB2_511 Depth=1
	s_delay_alu instid0(SALU_CYCLE_1) | instskip(SKIP_4) | instid1(VALU_DEP_2)
	s_or_b32 exec_lo, exec_lo, s24
	v_and_b32_e32 v10, 14, v86
	v_mov_b32_e32 v16, 0
	s_mov_b32 s10, 0
	s_mov_b32 s24, exec_lo
                                        ; implicit-def: $vgpr86
                                        ; implicit-def: $vgpr17
	v_cndmask_b32_e64 v96, v97, v10, s7
	s_delay_alu instid0(VALU_DEP_1)
	v_cmpx_ne_u32_e32 0, v96
	s_cbranch_execz .LBB2_797
; %bb.695:                              ;   in Loop: Header=BB2_511 Depth=1
	v_cmp_lt_i32_e32 vcc_lo, 0, v98
	v_ashrrev_i32_e32 v13, 31, v96
	s_mov_b32 s25, exec_lo
	v_cndmask_b32_e32 v11, 0, v54, vcc_lo
	s_delay_alu instid0(VALU_DEP_2) | instskip(NEXT) | instid1(VALU_DEP_2)
	v_lshrrev_b32_e32 v13, 23, v13
	v_sub_nc_u32_e32 v11, v11, v98
	s_delay_alu instid0(VALU_DEP_2) | instskip(NEXT) | instid1(VALU_DEP_2)
	v_add_nc_u32_e32 v13, v96, v13
	v_lshl_add_u32 v11, v11, 5, v68
	s_delay_alu instid0(VALU_DEP_2) | instskip(SKIP_1) | instid1(VALU_DEP_3)
	v_and_b32_e32 v99, 0xfffffe00, v13
	v_ashrrev_i32_e32 v13, 9, v13
	v_ashrrev_i32_e32 v12, 31, v11
	s_delay_alu instid0(VALU_DEP_3) | instskip(NEXT) | instid1(VALU_DEP_2)
	v_sub_nc_u32_e32 v86, v96, v99
	v_lshrrev_b32_e32 v12, 27, v12
	s_delay_alu instid0(VALU_DEP_1) | instskip(NEXT) | instid1(VALU_DEP_1)
	v_add_nc_u32_e32 v12, v11, v12
	v_and_b32_e32 v14, 0xffffffe0, v12
	s_delay_alu instid0(VALU_DEP_1) | instskip(SKIP_2) | instid1(VALU_DEP_3)
	v_sub_nc_u32_e32 v98, v11, v14
	v_ashrrev_i32_e32 v11, 5, v12
	v_sub_nc_u32_e32 v14, v97, v10
	v_lshlrev_b32_e32 v12, 4, v98
	s_delay_alu instid0(VALU_DEP_1) | instskip(NEXT) | instid1(VALU_DEP_3)
	v_lshl_add_u32 v10, v11, 9, v12
	v_cndmask_b32_e64 v12, 0, v14, s7
	v_cmp_lt_i32_e64 s7, 15, v86
	s_delay_alu instid0(VALU_DEP_3) | instskip(NEXT) | instid1(VALU_DEP_3)
	v_sub_nc_u32_e32 v100, v96, v10
	v_add_nc_u32_e32 v87, v12, v87
	s_delay_alu instid0(VALU_DEP_3) | instskip(NEXT) | instid1(VALU_DEP_1)
	v_add_co_ci_u32_e64 v13, vcc_lo, 0, v13, s7
	v_sub_nc_u32_e32 v97, v13, v11
	s_delay_alu instid0(VALU_DEP_4)
	v_cmpx_lt_i32_e32 15, v100
	s_cbranch_execz .LBB2_796
; %bb.696:                              ;   in Loop: Header=BB2_511 Depth=1
	s_cbranch_execnz .LBB2_1414
; %bb.697:                              ;   in Loop: Header=BB2_511 Depth=1
	ds_load_b128 v[11:14], v0
	ds_load_b64 v[15:16], v0
	v_add_nc_u32_e32 v10, v10, v87
	s_bitcmp1_b32 s23, 0
	s_mov_b32 s26, 0
	s_cselect_b32 s27, -1, 0
	s_delay_alu instid0(VALU_DEP_1) | instskip(SKIP_2) | instid1(VALU_DEP_2)
	v_ashrrev_i32_e32 v17, 31, v10
	s_waitcnt lgkmcnt(1)
	v_add_co_u32 v48, vcc_lo, v11, v10
	v_add_co_ci_u32_e32 v49, vcc_lo, v12, v17, vcc_lo
	v_add_co_u32 v50, vcc_lo, v13, v10
	v_add_co_ci_u32_e32 v51, vcc_lo, v14, v17, vcc_lo
	s_waitcnt lgkmcnt(0)
	v_add_co_u32 v52, vcc_lo, v15, v10
	v_add_co_ci_u32_e32 v53, vcc_lo, v16, v17, vcc_lo
	s_branch .LBB2_701
.LBB2_698:                              ;   in Loop: Header=BB2_701 Depth=2
	s_or_b32 exec_lo, exec_lo, s28
	s_delay_alu instid0(VALU_DEP_1)
	v_mov_b32_e32 v112, v102
.LBB2_699:                              ;   in Loop: Header=BB2_701 Depth=2
	s_or_b32 exec_lo, exec_lo, s12
	s_delay_alu instid0(VALU_DEP_1)
	v_mov_b32_e32 v17, v112
.LBB2_700:                              ;   in Loop: Header=BB2_701 Depth=2
	v_lshlrev_b32_e32 v10, 16, v10
	v_and_b32_e32 v13, 0xffff, v101
	v_lshlrev_b32_e32 v16, 16, v16
	v_and_b32_e32 v15, 0xffff, v15
	;; [unrolled: 2-line block ×3, first 2 shown]
	v_or_b32_e32 v10, v10, v13
	v_lshlrev_b32_e32 v13, 16, v17
	v_and_b32_e32 v12, 0xffff, v12
	v_or_b32_e32 v15, v16, v15
	v_add_co_u32 v48, vcc_lo, v48, v71
	v_or3_b32 v11, v14, v11, 0
	v_or3_b32 v10, 0, 0, v10
	;; [unrolled: 1-line block ×4, first 2 shown]
	v_sub_nc_u32_e32 v100, v100, v66
	v_add_co_ci_u32_e32 v49, vcc_lo, v49, v80, vcc_lo
	v_add_co_u32 v50, vcc_lo, v50, v71
	v_add_co_ci_u32_e32 v51, vcc_lo, v51, v80, vcc_lo
	global_store_b128 v[52:53], v[10:13], off glc slc dlc
	v_cmp_gt_i32_e32 vcc_lo, 16, v100
	v_add_co_u32 v52, s10, v52, v71
	s_delay_alu instid0(VALU_DEP_1) | instskip(SKIP_2) | instid1(SALU_CYCLE_1)
	v_add_co_ci_u32_e64 v53, s10, v53, v80, s10
	v_sub_nc_u32_e32 v97, v97, v54
	s_or_b32 s26, vcc_lo, s26
	s_and_not1_b32 exec_lo, exec_lo, s26
	s_cbranch_execz .LBB2_795
.LBB2_701:                              ;   Parent Loop BB2_511 Depth=1
                                        ; =>  This Inner Loop Header: Depth=2
	global_load_b128 v[14:17], v[48:49], off slc dlc
	global_load_b128 v[10:13], v[50:51], off slc dlc
	s_mov_b32 s12, -1
	s_and_b32 vcc_lo, exec_lo, s27
	s_waitcnt vmcnt(1)
	v_and_b32_e32 v101, 0x7fff, v14
	s_waitcnt vmcnt(0)
	v_and_b32_e32 v102, 0x7fff, v10
	v_perm_b32 v103, v10, v14, 0x5040100
	s_delay_alu instid0(VALU_DEP_3) | instskip(NEXT) | instid1(VALU_DEP_3)
	v_cmp_lt_u16_e64 s10, 0x7c00, v101
	v_cmp_gt_u16_e64 s11, 0x7c01, v102
                                        ; implicit-def: $vgpr101
	s_delay_alu instid0(VALU_DEP_1) | instskip(NEXT) | instid1(SALU_CYCLE_1)
	s_and_b32 s28, s10, s11
	s_xor_b32 s28, s28, -1
	s_cbranch_vccz .LBB2_707
; %bb.702:                              ;   in Loop: Header=BB2_701 Depth=2
	v_mov_b32_e32 v101, v10
	s_and_saveexec_b32 s29, s28
	s_cbranch_execz .LBB2_706
; %bb.703:                              ;   in Loop: Header=BB2_701 Depth=2
	v_mov_b32_e32 v101, v14
	s_or_b32 s12, s10, s11
	s_delay_alu instid0(SALU_CYCLE_1)
	s_and_saveexec_b32 vcc_hi, s12
; %bb.704:                              ;   in Loop: Header=BB2_701 Depth=2
	v_lshrrev_b32_e32 v101, 16, v103
	v_cmp_lt_u16_e32 vcc_lo, 0x7c00, v102
	s_delay_alu instid0(VALU_DEP_2) | instskip(NEXT) | instid1(VALU_DEP_1)
	v_cmp_gt_f16_e64 s12, v103, v101
	v_cndmask_b32_e64 v101, v101, v103, s12
	s_and_b32 s12, s10, vcc_lo
	s_delay_alu instid0(VALU_DEP_1) | instid1(SALU_CYCLE_1)
	v_cndmask_b32_e64 v101, v101, 0x7fff, s12
; %bb.705:                              ;   in Loop: Header=BB2_701 Depth=2
	s_or_b32 exec_lo, exec_lo, vcc_hi
.LBB2_706:                              ;   in Loop: Header=BB2_701 Depth=2
	s_delay_alu instid0(SALU_CYCLE_1)
	s_or_b32 exec_lo, exec_lo, s29
	s_mov_b32 s12, 0
.LBB2_707:                              ;   in Loop: Header=BB2_701 Depth=2
	s_delay_alu instid0(SALU_CYCLE_1)
	s_and_not1_b32 vcc_lo, exec_lo, s12
	s_cbranch_vccnz .LBB2_713
; %bb.708:                              ;   in Loop: Header=BB2_701 Depth=2
	v_mov_b32_e32 v101, v10
	s_and_saveexec_b32 s12, s28
	s_cbranch_execz .LBB2_712
; %bb.709:                              ;   in Loop: Header=BB2_701 Depth=2
	v_mov_b32_e32 v101, v14
	s_or_b32 s11, s10, s11
	s_delay_alu instid0(SALU_CYCLE_1)
	s_and_saveexec_b32 s28, s11
; %bb.710:                              ;   in Loop: Header=BB2_701 Depth=2
	v_lshrrev_b32_e32 v101, 16, v103
	v_cmp_lt_u16_e32 vcc_lo, 0x7c00, v102
	s_delay_alu instid0(VALU_DEP_2) | instskip(SKIP_1) | instid1(VALU_DEP_1)
	v_cmp_gt_f16_e64 s11, v103, v101
	s_and_b32 s10, s10, vcc_lo
	v_cndmask_b32_e64 v101, v103, v101, s11
	s_delay_alu instid0(VALU_DEP_1)
	v_cndmask_b32_e64 v101, v101, 0x7fff, s10
; %bb.711:                              ;   in Loop: Header=BB2_701 Depth=2
	s_or_b32 exec_lo, exec_lo, s28
.LBB2_712:                              ;   in Loop: Header=BB2_701 Depth=2
	s_delay_alu instid0(SALU_CYCLE_1)
	s_or_b32 exec_lo, exec_lo, s12
.LBB2_713:                              ;   in Loop: Header=BB2_701 Depth=2
	v_mov_b32_e32 v113, v14
	v_mov_b32_e32 v114, v10
	;; [unrolled: 1-line block ×4, first 2 shown]
	s_mov_b32 s12, -1
	v_lshrrev_b32_e32 v102, 16, v113
	v_lshrrev_b32_e32 v112, 16, v114
	s_and_b32 vcc_lo, exec_lo, s27
	s_delay_alu instid0(VALU_DEP_2) | instskip(NEXT) | instid1(VALU_DEP_2)
	v_and_b32_e32 v10, 0x7fff, v102
	v_and_b32_e32 v103, 0x7fff, v112
	v_perm_b32 v11, v114, v113, 0x7060302
	s_delay_alu instid0(VALU_DEP_3) | instskip(NEXT) | instid1(VALU_DEP_3)
	v_cmp_lt_u16_e64 s10, 0x7c00, v10
	v_cmp_gt_u16_e64 s11, 0x7c01, v103
                                        ; implicit-def: $vgpr10
	s_delay_alu instid0(VALU_DEP_1) | instskip(NEXT) | instid1(SALU_CYCLE_1)
	s_and_b32 s28, s10, s11
	s_xor_b32 s28, s28, -1
	s_cbranch_vccz .LBB2_719
; %bb.714:                              ;   in Loop: Header=BB2_701 Depth=2
	v_mov_b32_e32 v10, v112
	s_and_saveexec_b32 s29, s28
	s_cbranch_execz .LBB2_718
; %bb.715:                              ;   in Loop: Header=BB2_701 Depth=2
	v_mov_b32_e32 v10, v102
	s_or_b32 s12, s10, s11
	s_delay_alu instid0(SALU_CYCLE_1)
	s_and_saveexec_b32 vcc_hi, s12
; %bb.716:                              ;   in Loop: Header=BB2_701 Depth=2
	v_lshrrev_b32_e32 v10, 16, v11
	v_cmp_lt_u16_e32 vcc_lo, 0x7c00, v103
	s_delay_alu instid0(VALU_DEP_2) | instskip(NEXT) | instid1(VALU_DEP_1)
	v_cmp_gt_f16_e64 s12, v11, v10
	v_cndmask_b32_e64 v10, v10, v11, s12
	s_and_b32 s12, s10, vcc_lo
	s_delay_alu instid0(VALU_DEP_1) | instid1(SALU_CYCLE_1)
	v_cndmask_b32_e64 v10, v10, 0x7fff, s12
; %bb.717:                              ;   in Loop: Header=BB2_701 Depth=2
	s_or_b32 exec_lo, exec_lo, vcc_hi
.LBB2_718:                              ;   in Loop: Header=BB2_701 Depth=2
	s_delay_alu instid0(SALU_CYCLE_1)
	s_or_b32 exec_lo, exec_lo, s29
	s_mov_b32 s12, 0
.LBB2_719:                              ;   in Loop: Header=BB2_701 Depth=2
	s_delay_alu instid0(SALU_CYCLE_1)
	s_and_not1_b32 vcc_lo, exec_lo, s12
	s_cbranch_vccnz .LBB2_725
; %bb.720:                              ;   in Loop: Header=BB2_701 Depth=2
	s_and_saveexec_b32 s12, s28
	s_cbranch_execz .LBB2_724
; %bb.721:                              ;   in Loop: Header=BB2_701 Depth=2
	s_or_b32 s11, s10, s11
	s_delay_alu instid0(SALU_CYCLE_1)
	s_and_saveexec_b32 s28, s11
; %bb.722:                              ;   in Loop: Header=BB2_701 Depth=2
	v_lshrrev_b32_e32 v10, 16, v11
	v_cmp_lt_u16_e32 vcc_lo, 0x7c00, v103
	s_delay_alu instid0(VALU_DEP_2) | instskip(SKIP_1) | instid1(VALU_DEP_1)
	v_cmp_gt_f16_e64 s11, v11, v10
	s_and_b32 s10, s10, vcc_lo
	v_cndmask_b32_e64 v10, v11, v10, s11
	s_delay_alu instid0(VALU_DEP_1)
	v_cndmask_b32_e64 v102, v10, 0x7fff, s10
; %bb.723:                              ;   in Loop: Header=BB2_701 Depth=2
	s_or_b32 exec_lo, exec_lo, s28
	s_delay_alu instid0(VALU_DEP_1)
	v_mov_b32_e32 v112, v102
.LBB2_724:                              ;   in Loop: Header=BB2_701 Depth=2
	s_or_b32 exec_lo, exec_lo, s12
	s_delay_alu instid0(VALU_DEP_1)
	v_mov_b32_e32 v10, v112
.LBB2_725:                              ;   in Loop: Header=BB2_701 Depth=2
	v_and_b32_e32 v11, 0x7fff, v14
	v_and_b32_e32 v102, 0x7fff, v15
	v_perm_b32 v103, v15, v14, 0x5040100
	s_mov_b32 s12, -1
	s_and_b32 vcc_lo, exec_lo, s27
	v_cmp_lt_u16_e64 s10, 0x7c00, v11
	v_cmp_gt_u16_e64 s11, 0x7c01, v102
                                        ; implicit-def: $vgpr11
	s_delay_alu instid0(VALU_DEP_1) | instskip(NEXT) | instid1(SALU_CYCLE_1)
	s_and_b32 s28, s10, s11
	s_xor_b32 s28, s28, -1
	s_cbranch_vccz .LBB2_731
; %bb.726:                              ;   in Loop: Header=BB2_701 Depth=2
	v_mov_b32_e32 v11, v15
	s_and_saveexec_b32 s29, s28
	s_cbranch_execz .LBB2_730
; %bb.727:                              ;   in Loop: Header=BB2_701 Depth=2
	v_mov_b32_e32 v11, v14
	s_or_b32 s12, s10, s11
	s_delay_alu instid0(SALU_CYCLE_1)
	s_and_saveexec_b32 vcc_hi, s12
; %bb.728:                              ;   in Loop: Header=BB2_701 Depth=2
	v_lshrrev_b32_e32 v11, 16, v103
	v_cmp_lt_u16_e32 vcc_lo, 0x7c00, v102
	s_delay_alu instid0(VALU_DEP_2) | instskip(NEXT) | instid1(VALU_DEP_1)
	v_cmp_gt_f16_e64 s12, v103, v11
	v_cndmask_b32_e64 v11, v11, v103, s12
	s_and_b32 s12, s10, vcc_lo
	s_delay_alu instid0(VALU_DEP_1) | instid1(SALU_CYCLE_1)
	v_cndmask_b32_e64 v11, v11, 0x7fff, s12
; %bb.729:                              ;   in Loop: Header=BB2_701 Depth=2
	s_or_b32 exec_lo, exec_lo, vcc_hi
.LBB2_730:                              ;   in Loop: Header=BB2_701 Depth=2
	s_delay_alu instid0(SALU_CYCLE_1)
	s_or_b32 exec_lo, exec_lo, s29
	s_mov_b32 s12, 0
.LBB2_731:                              ;   in Loop: Header=BB2_701 Depth=2
	s_delay_alu instid0(SALU_CYCLE_1)
	s_and_not1_b32 vcc_lo, exec_lo, s12
	s_cbranch_vccnz .LBB2_737
; %bb.732:                              ;   in Loop: Header=BB2_701 Depth=2
	v_mov_b32_e32 v11, v15
	s_and_saveexec_b32 s12, s28
	s_cbranch_execz .LBB2_736
; %bb.733:                              ;   in Loop: Header=BB2_701 Depth=2
	v_mov_b32_e32 v11, v14
	s_or_b32 s11, s10, s11
	s_delay_alu instid0(SALU_CYCLE_1)
	s_and_saveexec_b32 s28, s11
; %bb.734:                              ;   in Loop: Header=BB2_701 Depth=2
	v_lshrrev_b32_e32 v11, 16, v103
	v_cmp_lt_u16_e32 vcc_lo, 0x7c00, v102
	s_delay_alu instid0(VALU_DEP_2) | instskip(SKIP_1) | instid1(VALU_DEP_1)
	v_cmp_gt_f16_e64 s11, v103, v11
	s_and_b32 s10, s10, vcc_lo
	v_cndmask_b32_e64 v11, v103, v11, s11
	s_delay_alu instid0(VALU_DEP_1)
	v_cndmask_b32_e64 v11, v11, 0x7fff, s10
; %bb.735:                              ;   in Loop: Header=BB2_701 Depth=2
	s_or_b32 exec_lo, exec_lo, s28
.LBB2_736:                              ;   in Loop: Header=BB2_701 Depth=2
	s_delay_alu instid0(SALU_CYCLE_1)
	s_or_b32 exec_lo, exec_lo, s12
.LBB2_737:                              ;   in Loop: Header=BB2_701 Depth=2
	v_lshrrev_b32_e32 v102, 16, v14
	v_lshrrev_b32_e32 v112, 16, v15
	v_perm_b32 v15, v15, v14, 0x7060302
	s_mov_b32 s12, -1
	s_and_b32 vcc_lo, exec_lo, s27
	v_and_b32_e32 v113, 0x7fff, v102
	v_and_b32_e32 v103, 0x7fff, v112
                                        ; implicit-def: $vgpr14
	s_delay_alu instid0(VALU_DEP_2) | instskip(NEXT) | instid1(VALU_DEP_2)
	v_cmp_lt_u16_e64 s10, 0x7c00, v113
	v_cmp_gt_u16_e64 s11, 0x7c01, v103
	s_delay_alu instid0(VALU_DEP_1) | instskip(NEXT) | instid1(SALU_CYCLE_1)
	s_and_b32 s28, s10, s11
	s_xor_b32 s28, s28, -1
	s_cbranch_vccz .LBB2_743
; %bb.738:                              ;   in Loop: Header=BB2_701 Depth=2
	v_mov_b32_e32 v14, v112
	s_and_saveexec_b32 s29, s28
	s_cbranch_execz .LBB2_742
; %bb.739:                              ;   in Loop: Header=BB2_701 Depth=2
	v_mov_b32_e32 v14, v102
	s_or_b32 s12, s10, s11
	s_delay_alu instid0(SALU_CYCLE_1)
	s_and_saveexec_b32 vcc_hi, s12
; %bb.740:                              ;   in Loop: Header=BB2_701 Depth=2
	v_lshrrev_b32_e32 v14, 16, v15
	v_cmp_lt_u16_e32 vcc_lo, 0x7c00, v103
	s_delay_alu instid0(VALU_DEP_2) | instskip(NEXT) | instid1(VALU_DEP_1)
	v_cmp_gt_f16_e64 s12, v15, v14
	v_cndmask_b32_e64 v14, v14, v15, s12
	s_and_b32 s12, s10, vcc_lo
	s_delay_alu instid0(VALU_DEP_1) | instid1(SALU_CYCLE_1)
	v_cndmask_b32_e64 v14, v14, 0x7fff, s12
; %bb.741:                              ;   in Loop: Header=BB2_701 Depth=2
	s_or_b32 exec_lo, exec_lo, vcc_hi
.LBB2_742:                              ;   in Loop: Header=BB2_701 Depth=2
	s_delay_alu instid0(SALU_CYCLE_1)
	s_or_b32 exec_lo, exec_lo, s29
	s_mov_b32 s12, 0
.LBB2_743:                              ;   in Loop: Header=BB2_701 Depth=2
	s_delay_alu instid0(SALU_CYCLE_1)
	s_and_not1_b32 vcc_lo, exec_lo, s12
	s_cbranch_vccnz .LBB2_749
; %bb.744:                              ;   in Loop: Header=BB2_701 Depth=2
	s_and_saveexec_b32 s12, s28
	s_cbranch_execz .LBB2_748
; %bb.745:                              ;   in Loop: Header=BB2_701 Depth=2
	s_or_b32 s11, s10, s11
	s_delay_alu instid0(SALU_CYCLE_1)
	s_and_saveexec_b32 s28, s11
; %bb.746:                              ;   in Loop: Header=BB2_701 Depth=2
	v_lshrrev_b32_e32 v14, 16, v15
	v_cmp_lt_u16_e32 vcc_lo, 0x7c00, v103
	s_delay_alu instid0(VALU_DEP_2) | instskip(SKIP_1) | instid1(VALU_DEP_1)
	v_cmp_gt_f16_e64 s11, v15, v14
	s_and_b32 s10, s10, vcc_lo
	v_cndmask_b32_e64 v14, v15, v14, s11
	s_delay_alu instid0(VALU_DEP_1)
	v_cndmask_b32_e64 v102, v14, 0x7fff, s10
; %bb.747:                              ;   in Loop: Header=BB2_701 Depth=2
	s_or_b32 exec_lo, exec_lo, s28
	s_delay_alu instid0(VALU_DEP_1)
	v_mov_b32_e32 v112, v102
.LBB2_748:                              ;   in Loop: Header=BB2_701 Depth=2
	s_or_b32 exec_lo, exec_lo, s12
	s_delay_alu instid0(VALU_DEP_1)
	v_mov_b32_e32 v14, v112
.LBB2_749:                              ;   in Loop: Header=BB2_701 Depth=2
	v_and_b32_e32 v15, 0x7fff, v16
	v_and_b32_e32 v102, 0x7fff, v12
	v_perm_b32 v103, v12, v16, 0x5040100
	s_mov_b32 s12, -1
	s_and_b32 vcc_lo, exec_lo, s27
	v_cmp_lt_u16_e64 s10, 0x7c00, v15
	v_cmp_gt_u16_e64 s11, 0x7c01, v102
                                        ; implicit-def: $vgpr15
	s_delay_alu instid0(VALU_DEP_1) | instskip(NEXT) | instid1(SALU_CYCLE_1)
	s_and_b32 s28, s10, s11
	s_xor_b32 s28, s28, -1
	s_cbranch_vccz .LBB2_755
; %bb.750:                              ;   in Loop: Header=BB2_701 Depth=2
	v_mov_b32_e32 v15, v12
	s_and_saveexec_b32 s29, s28
	s_cbranch_execz .LBB2_754
; %bb.751:                              ;   in Loop: Header=BB2_701 Depth=2
	v_mov_b32_e32 v15, v16
	s_or_b32 s12, s10, s11
	s_delay_alu instid0(SALU_CYCLE_1)
	s_and_saveexec_b32 vcc_hi, s12
; %bb.752:                              ;   in Loop: Header=BB2_701 Depth=2
	v_lshrrev_b32_e32 v15, 16, v103
	v_cmp_lt_u16_e32 vcc_lo, 0x7c00, v102
	s_delay_alu instid0(VALU_DEP_2) | instskip(NEXT) | instid1(VALU_DEP_1)
	v_cmp_gt_f16_e64 s12, v103, v15
	v_cndmask_b32_e64 v15, v15, v103, s12
	s_and_b32 s12, s10, vcc_lo
	s_delay_alu instid0(VALU_DEP_1) | instid1(SALU_CYCLE_1)
	v_cndmask_b32_e64 v15, v15, 0x7fff, s12
; %bb.753:                              ;   in Loop: Header=BB2_701 Depth=2
	s_or_b32 exec_lo, exec_lo, vcc_hi
.LBB2_754:                              ;   in Loop: Header=BB2_701 Depth=2
	s_delay_alu instid0(SALU_CYCLE_1)
	s_or_b32 exec_lo, exec_lo, s29
	s_mov_b32 s12, 0
.LBB2_755:                              ;   in Loop: Header=BB2_701 Depth=2
	s_delay_alu instid0(SALU_CYCLE_1)
	s_and_not1_b32 vcc_lo, exec_lo, s12
	s_cbranch_vccnz .LBB2_761
; %bb.756:                              ;   in Loop: Header=BB2_701 Depth=2
	v_mov_b32_e32 v15, v12
	s_and_saveexec_b32 s12, s28
	s_cbranch_execz .LBB2_760
; %bb.757:                              ;   in Loop: Header=BB2_701 Depth=2
	v_mov_b32_e32 v15, v16
	s_or_b32 s11, s10, s11
	s_delay_alu instid0(SALU_CYCLE_1)
	s_and_saveexec_b32 s28, s11
; %bb.758:                              ;   in Loop: Header=BB2_701 Depth=2
	v_lshrrev_b32_e32 v15, 16, v103
	v_cmp_lt_u16_e32 vcc_lo, 0x7c00, v102
	s_delay_alu instid0(VALU_DEP_2) | instskip(SKIP_1) | instid1(VALU_DEP_1)
	v_cmp_gt_f16_e64 s11, v103, v15
	s_and_b32 s10, s10, vcc_lo
	v_cndmask_b32_e64 v15, v103, v15, s11
	s_delay_alu instid0(VALU_DEP_1)
	v_cndmask_b32_e64 v15, v15, 0x7fff, s10
; %bb.759:                              ;   in Loop: Header=BB2_701 Depth=2
	s_or_b32 exec_lo, exec_lo, s28
.LBB2_760:                              ;   in Loop: Header=BB2_701 Depth=2
	s_delay_alu instid0(SALU_CYCLE_1)
	s_or_b32 exec_lo, exec_lo, s12
.LBB2_761:                              ;   in Loop: Header=BB2_701 Depth=2
	v_mov_b32_e32 v113, v16
	v_lshrrev_b32_e32 v112, 16, v12
	s_mov_b32 s12, -1
	s_and_b32 vcc_lo, exec_lo, s27
	s_delay_alu instid0(VALU_DEP_2) | instskip(NEXT) | instid1(VALU_DEP_2)
	v_lshrrev_b32_e32 v102, 16, v113
	v_and_b32_e32 v103, 0x7fff, v112
	s_delay_alu instid0(VALU_DEP_2) | instskip(NEXT) | instid1(VALU_DEP_2)
	v_and_b32_e32 v16, 0x7fff, v102
	v_cmp_gt_u16_e64 s11, 0x7c01, v103
	v_perm_b32 v12, v12, v113, 0x7060302
	s_delay_alu instid0(VALU_DEP_3) | instskip(NEXT) | instid1(VALU_DEP_1)
	v_cmp_lt_u16_e64 s10, 0x7c00, v16
                                        ; implicit-def: $vgpr16
	s_and_b32 s28, s10, s11
	s_delay_alu instid0(SALU_CYCLE_1)
	s_xor_b32 s28, s28, -1
	s_cbranch_vccz .LBB2_767
; %bb.762:                              ;   in Loop: Header=BB2_701 Depth=2
	v_mov_b32_e32 v16, v112
	s_and_saveexec_b32 s29, s28
	s_cbranch_execz .LBB2_766
; %bb.763:                              ;   in Loop: Header=BB2_701 Depth=2
	v_mov_b32_e32 v16, v102
	s_or_b32 s12, s10, s11
	s_delay_alu instid0(SALU_CYCLE_1)
	s_and_saveexec_b32 vcc_hi, s12
; %bb.764:                              ;   in Loop: Header=BB2_701 Depth=2
	v_lshrrev_b32_e32 v16, 16, v12
	v_cmp_lt_u16_e32 vcc_lo, 0x7c00, v103
	s_delay_alu instid0(VALU_DEP_2) | instskip(NEXT) | instid1(VALU_DEP_1)
	v_cmp_gt_f16_e64 s12, v12, v16
	v_cndmask_b32_e64 v16, v16, v12, s12
	s_and_b32 s12, s10, vcc_lo
	s_delay_alu instid0(VALU_DEP_1) | instid1(SALU_CYCLE_1)
	v_cndmask_b32_e64 v16, v16, 0x7fff, s12
; %bb.765:                              ;   in Loop: Header=BB2_701 Depth=2
	s_or_b32 exec_lo, exec_lo, vcc_hi
.LBB2_766:                              ;   in Loop: Header=BB2_701 Depth=2
	s_delay_alu instid0(SALU_CYCLE_1)
	s_or_b32 exec_lo, exec_lo, s29
	s_mov_b32 s12, 0
.LBB2_767:                              ;   in Loop: Header=BB2_701 Depth=2
	s_delay_alu instid0(SALU_CYCLE_1)
	s_and_not1_b32 vcc_lo, exec_lo, s12
	s_cbranch_vccnz .LBB2_773
; %bb.768:                              ;   in Loop: Header=BB2_701 Depth=2
	s_and_saveexec_b32 s12, s28
	s_cbranch_execz .LBB2_772
; %bb.769:                              ;   in Loop: Header=BB2_701 Depth=2
	s_or_b32 s11, s10, s11
	s_delay_alu instid0(SALU_CYCLE_1)
	s_and_saveexec_b32 s28, s11
; %bb.770:                              ;   in Loop: Header=BB2_701 Depth=2
	v_lshrrev_b32_e32 v16, 16, v12
	v_cmp_lt_u16_e32 vcc_lo, 0x7c00, v103
	s_delay_alu instid0(VALU_DEP_2) | instskip(SKIP_1) | instid1(VALU_DEP_1)
	v_cmp_gt_f16_e64 s11, v12, v16
	s_and_b32 s10, s10, vcc_lo
	v_cndmask_b32_e64 v12, v12, v16, s11
	s_delay_alu instid0(VALU_DEP_1)
	v_cndmask_b32_e64 v102, v12, 0x7fff, s10
; %bb.771:                              ;   in Loop: Header=BB2_701 Depth=2
	s_or_b32 exec_lo, exec_lo, s28
	s_delay_alu instid0(VALU_DEP_1)
	v_mov_b32_e32 v112, v102
.LBB2_772:                              ;   in Loop: Header=BB2_701 Depth=2
	s_or_b32 exec_lo, exec_lo, s12
	s_delay_alu instid0(VALU_DEP_1)
	v_mov_b32_e32 v16, v112
.LBB2_773:                              ;   in Loop: Header=BB2_701 Depth=2
	v_and_b32_e32 v12, 0x7fff, v17
	v_and_b32_e32 v102, 0x7fff, v13
	v_perm_b32 v103, v13, v17, 0x5040100
	s_mov_b32 s12, -1
	s_and_b32 vcc_lo, exec_lo, s27
	v_cmp_lt_u16_e64 s10, 0x7c00, v12
	v_cmp_gt_u16_e64 s11, 0x7c01, v102
                                        ; implicit-def: $vgpr12
	s_delay_alu instid0(VALU_DEP_1) | instskip(NEXT) | instid1(SALU_CYCLE_1)
	s_and_b32 s28, s10, s11
	s_xor_b32 s28, s28, -1
	s_cbranch_vccz .LBB2_779
; %bb.774:                              ;   in Loop: Header=BB2_701 Depth=2
	v_mov_b32_e32 v12, v13
	s_and_saveexec_b32 s29, s28
	s_cbranch_execz .LBB2_778
; %bb.775:                              ;   in Loop: Header=BB2_701 Depth=2
	v_mov_b32_e32 v12, v17
	s_or_b32 s12, s10, s11
	s_delay_alu instid0(SALU_CYCLE_1)
	s_and_saveexec_b32 vcc_hi, s12
; %bb.776:                              ;   in Loop: Header=BB2_701 Depth=2
	v_lshrrev_b32_e32 v12, 16, v103
	v_cmp_lt_u16_e32 vcc_lo, 0x7c00, v102
	s_delay_alu instid0(VALU_DEP_2) | instskip(NEXT) | instid1(VALU_DEP_1)
	v_cmp_gt_f16_e64 s12, v103, v12
	v_cndmask_b32_e64 v12, v12, v103, s12
	s_and_b32 s12, s10, vcc_lo
	s_delay_alu instid0(VALU_DEP_1) | instid1(SALU_CYCLE_1)
	v_cndmask_b32_e64 v12, v12, 0x7fff, s12
; %bb.777:                              ;   in Loop: Header=BB2_701 Depth=2
	s_or_b32 exec_lo, exec_lo, vcc_hi
.LBB2_778:                              ;   in Loop: Header=BB2_701 Depth=2
	s_delay_alu instid0(SALU_CYCLE_1)
	s_or_b32 exec_lo, exec_lo, s29
	s_mov_b32 s12, 0
.LBB2_779:                              ;   in Loop: Header=BB2_701 Depth=2
	s_delay_alu instid0(SALU_CYCLE_1)
	s_and_not1_b32 vcc_lo, exec_lo, s12
	s_cbranch_vccnz .LBB2_785
; %bb.780:                              ;   in Loop: Header=BB2_701 Depth=2
	v_mov_b32_e32 v12, v13
	s_and_saveexec_b32 s12, s28
	s_cbranch_execz .LBB2_784
; %bb.781:                              ;   in Loop: Header=BB2_701 Depth=2
	v_mov_b32_e32 v12, v17
	s_or_b32 s11, s10, s11
	s_delay_alu instid0(SALU_CYCLE_1)
	s_and_saveexec_b32 s28, s11
; %bb.782:                              ;   in Loop: Header=BB2_701 Depth=2
	v_lshrrev_b32_e32 v12, 16, v103
	v_cmp_lt_u16_e32 vcc_lo, 0x7c00, v102
	s_delay_alu instid0(VALU_DEP_2) | instskip(SKIP_1) | instid1(VALU_DEP_1)
	v_cmp_gt_f16_e64 s11, v103, v12
	s_and_b32 s10, s10, vcc_lo
	v_cndmask_b32_e64 v12, v103, v12, s11
	s_delay_alu instid0(VALU_DEP_1)
	v_cndmask_b32_e64 v12, v12, 0x7fff, s10
; %bb.783:                              ;   in Loop: Header=BB2_701 Depth=2
	s_or_b32 exec_lo, exec_lo, s28
.LBB2_784:                              ;   in Loop: Header=BB2_701 Depth=2
	s_delay_alu instid0(SALU_CYCLE_1)
	s_or_b32 exec_lo, exec_lo, s12
.LBB2_785:                              ;   in Loop: Header=BB2_701 Depth=2
	v_lshrrev_b32_e32 v102, 16, v17
	v_lshrrev_b32_e32 v112, 16, v13
	v_perm_b32 v13, v13, v17, 0x7060302
	s_mov_b32 s12, -1
	s_and_b32 vcc_lo, exec_lo, s27
	v_and_b32_e32 v113, 0x7fff, v102
	v_and_b32_e32 v103, 0x7fff, v112
                                        ; implicit-def: $vgpr17
	s_delay_alu instid0(VALU_DEP_2) | instskip(NEXT) | instid1(VALU_DEP_2)
	v_cmp_lt_u16_e64 s10, 0x7c00, v113
	v_cmp_gt_u16_e64 s11, 0x7c01, v103
	s_delay_alu instid0(VALU_DEP_1) | instskip(NEXT) | instid1(SALU_CYCLE_1)
	s_and_b32 s28, s10, s11
	s_xor_b32 s28, s28, -1
	s_cbranch_vccz .LBB2_791
; %bb.786:                              ;   in Loop: Header=BB2_701 Depth=2
	v_mov_b32_e32 v17, v112
	s_and_saveexec_b32 s29, s28
	s_cbranch_execz .LBB2_790
; %bb.787:                              ;   in Loop: Header=BB2_701 Depth=2
	v_mov_b32_e32 v17, v102
	s_or_b32 s12, s10, s11
	s_delay_alu instid0(SALU_CYCLE_1)
	s_and_saveexec_b32 vcc_hi, s12
; %bb.788:                              ;   in Loop: Header=BB2_701 Depth=2
	v_lshrrev_b32_e32 v17, 16, v13
	v_cmp_lt_u16_e32 vcc_lo, 0x7c00, v103
	s_delay_alu instid0(VALU_DEP_2) | instskip(NEXT) | instid1(VALU_DEP_1)
	v_cmp_gt_f16_e64 s12, v13, v17
	v_cndmask_b32_e64 v17, v17, v13, s12
	s_and_b32 s12, s10, vcc_lo
	s_delay_alu instid0(VALU_DEP_1) | instid1(SALU_CYCLE_1)
	v_cndmask_b32_e64 v17, v17, 0x7fff, s12
; %bb.789:                              ;   in Loop: Header=BB2_701 Depth=2
	s_or_b32 exec_lo, exec_lo, vcc_hi
.LBB2_790:                              ;   in Loop: Header=BB2_701 Depth=2
	s_delay_alu instid0(SALU_CYCLE_1)
	s_or_b32 exec_lo, exec_lo, s29
	s_mov_b32 s12, 0
.LBB2_791:                              ;   in Loop: Header=BB2_701 Depth=2
	s_delay_alu instid0(SALU_CYCLE_1)
	s_and_not1_b32 vcc_lo, exec_lo, s12
	s_cbranch_vccnz .LBB2_700
; %bb.792:                              ;   in Loop: Header=BB2_701 Depth=2
	s_and_saveexec_b32 s12, s28
	s_cbranch_execz .LBB2_699
; %bb.793:                              ;   in Loop: Header=BB2_701 Depth=2
	s_or_b32 s11, s10, s11
	s_delay_alu instid0(SALU_CYCLE_1)
	s_and_saveexec_b32 s28, s11
	s_cbranch_execz .LBB2_698
; %bb.794:                              ;   in Loop: Header=BB2_701 Depth=2
	v_lshrrev_b32_e32 v17, 16, v13
	v_cmp_lt_u16_e32 vcc_lo, 0x7c00, v103
	s_delay_alu instid0(VALU_DEP_2) | instskip(SKIP_1) | instid1(VALU_DEP_1)
	v_cmp_gt_f16_e64 s11, v13, v17
	s_and_b32 s10, s10, vcc_lo
	v_cndmask_b32_e64 v13, v13, v17, s11
	s_delay_alu instid0(VALU_DEP_1)
	v_cndmask_b32_e64 v102, v13, 0x7fff, s10
	s_branch .LBB2_698
.LBB2_795:                              ;   in Loop: Header=BB2_511 Depth=1
	s_or_b32 exec_lo, exec_lo, s26
.LBB2_796:                              ;   in Loop: Header=BB2_511 Depth=1
	s_delay_alu instid0(SALU_CYCLE_1) | instskip(SKIP_2) | instid1(VALU_DEP_2)
	s_or_b32 exec_lo, exec_lo, s25
	v_and_b32_e32 v10, 14, v96
	v_cmp_lt_i32_e32 vcc_lo, 0, v97
	v_sub_nc_u32_e32 v11, v86, v10
	v_cndmask_b32_e32 v12, 0, v54, vcc_lo
	v_cndmask_b32_e64 v86, v86, v10, s7
	s_delay_alu instid0(VALU_DEP_3) | instskip(NEXT) | instid1(VALU_DEP_3)
	v_cndmask_b32_e64 v10, 0, v11, s7
	v_sub_nc_u32_e32 v11, v12, v97
	s_delay_alu instid0(VALU_DEP_3) | instskip(NEXT) | instid1(VALU_DEP_3)
	v_cmp_ne_u32_e32 vcc_lo, 0, v86
	v_add3_u32 v16, v99, v87, v10
	s_delay_alu instid0(VALU_DEP_3)
	v_lshl_add_u32 v17, v11, 5, v98
	s_and_b32 s10, vcc_lo, exec_lo
.LBB2_797:                              ;   in Loop: Header=BB2_511 Depth=1
	s_or_b32 exec_lo, exec_lo, s24
.LBB2_798:                              ;   in Loop: Header=BB2_511 Depth=1
	s_and_saveexec_b32 s12, s10
	s_cbranch_execz .LBB2_869
; %bb.799:                              ;   in Loop: Header=BB2_511 Depth=1
	s_delay_alu instid0(VALU_DEP_1) | instskip(SKIP_2) | instid1(VALU_DEP_2)
	v_ashrrev_i32_e32 v10, 31, v17
	v_ashrrev_i32_e32 v11, 31, v86
	s_mov_b32 s24, exec_lo
	v_lshrrev_b32_e32 v10, 27, v10
	s_delay_alu instid0(VALU_DEP_2) | instskip(NEXT) | instid1(VALU_DEP_2)
	v_lshrrev_b32_e32 v11, 24, v11
	v_add_nc_u32_e32 v10, v17, v10
	s_delay_alu instid0(VALU_DEP_2) | instskip(NEXT) | instid1(VALU_DEP_2)
	v_add_nc_u32_e32 v11, v86, v11
	v_ashrrev_i32_e32 v48, 5, v10
	s_delay_alu instid0(VALU_DEP_2) | instskip(NEXT) | instid1(VALU_DEP_1)
	v_ashrrev_i32_e32 v50, 8, v11
	v_sub_nc_u32_e32 v49, v50, v48
	s_delay_alu instid0(VALU_DEP_1)
	v_cmpx_lt_i32_e32 0, v49
	s_cbranch_execz .LBB2_852
; %bb.800:                              ;   in Loop: Header=BB2_511 Depth=1
	s_cbranch_execnz .LBB2_1386
; %bb.801:                              ;   in Loop: Header=BB2_511 Depth=1
	v_and_b32_e32 v14, 0x7fffffe0, v10
	ds_load_b128 v[10:13], v0
	v_lshlrev_b32_e32 v51, 8, v48
	s_bitcmp1_b32 s23, 0
	s_mov_b32 s25, 0
	v_sub_nc_u32_e32 v14, v17, v14
	s_cselect_b32 s26, -1, 0
	s_delay_alu instid0(VALU_DEP_1) | instskip(SKIP_2) | instid1(VALU_DEP_1)
	v_lshlrev_b32_e32 v52, 1, v14
	ds_load_b64 v[14:15], v0
	v_add3_u32 v51, v52, v16, v51
	v_ashrrev_i32_e32 v52, 31, v51
	s_waitcnt lgkmcnt(1)
	v_add_co_u32 v10, vcc_lo, v10, v51
	s_delay_alu instid0(VALU_DEP_2)
	v_add_co_ci_u32_e32 v11, vcc_lo, v11, v52, vcc_lo
	v_add_co_u32 v12, vcc_lo, v12, v51
	v_add_co_ci_u32_e32 v13, vcc_lo, v13, v52, vcc_lo
	s_waitcnt lgkmcnt(0)
	v_add_co_u32 v14, vcc_lo, v14, v51
	v_add_co_ci_u32_e32 v15, vcc_lo, v15, v52, vcc_lo
	s_branch .LBB2_805
.LBB2_802:                              ;   in Loop: Header=BB2_805 Depth=2
	s_or_b32 exec_lo, exec_lo, s27
	s_delay_alu instid0(VALU_DEP_1)
	v_mov_b32_e32 v52, v51
.LBB2_803:                              ;   in Loop: Header=BB2_805 Depth=2
	s_or_b32 exec_lo, exec_lo, s11
	s_delay_alu instid0(VALU_DEP_1)
	v_mov_b32_e32 v96, v52
.LBB2_804:                              ;   in Loop: Header=BB2_805 Depth=2
	v_add_co_u32 v10, vcc_lo, v10, v81
	v_sub_nc_u32_e32 v49, v49, v54
	v_add_co_ci_u32_e32 v11, vcc_lo, v11, v82, vcc_lo
	v_add_co_u32 v12, vcc_lo, v12, v81
	v_add_co_ci_u32_e32 v13, vcc_lo, v13, v82, vcc_lo
	s_clause 0x3
	flat_store_b16 v[14:15], v53 glc slc dlc
	flat_store_b16 v[14:15], v97 offset:64 glc slc dlc
	flat_store_b16 v[14:15], v98 offset:128 glc slc dlc
	;; [unrolled: 1-line block ×3, first 2 shown]
	v_cmp_gt_i32_e32 vcc_lo, 1, v49
	v_add_co_u32 v14, s7, v14, v81
	s_delay_alu instid0(VALU_DEP_1) | instskip(SKIP_1) | instid1(SALU_CYCLE_1)
	v_add_co_ci_u32_e64 v15, s7, v15, v82, s7
	s_or_b32 s25, vcc_lo, s25
	s_and_not1_b32 exec_lo, exec_lo, s25
	s_cbranch_execz .LBB2_851
.LBB2_805:                              ;   Parent Loop BB2_511 Depth=1
                                        ; =>  This Inner Loop Header: Depth=2
	flat_load_u16 v97, v[10:11] slc dlc
	flat_load_u16 v100, v[12:13] slc dlc
	s_clause 0x2
	flat_load_u16 v98, v[10:11] offset:64 slc dlc
	flat_load_u16 v87, v[10:11] offset:128 slc dlc
	;; [unrolled: 1-line block ×3, first 2 shown]
	s_clause 0x2
	flat_load_u16 v99, v[12:13] offset:64 slc dlc
	flat_load_u16 v96, v[12:13] offset:128 slc dlc
	;; [unrolled: 1-line block ×3, first 2 shown]
	s_mov_b32 s11, -1
	s_and_b32 vcc_lo, exec_lo, s26
	s_waitcnt vmcnt(7) lgkmcnt(7)
	v_and_b32_e32 v53, 0x7fff, v97
	s_waitcnt vmcnt(6) lgkmcnt(6)
	v_and_b32_e32 v101, 0x7fff, v100
	s_delay_alu instid0(VALU_DEP_2) | instskip(NEXT) | instid1(VALU_DEP_2)
	v_cmp_lt_u16_e64 s7, 0x7c00, v53
	v_cmp_gt_u16_e64 s10, 0x7c01, v101
                                        ; implicit-def: $vgpr53
	s_delay_alu instid0(VALU_DEP_1) | instskip(NEXT) | instid1(SALU_CYCLE_1)
	s_and_b32 s27, s7, s10
	s_xor_b32 s27, s27, -1
	s_cbranch_vccz .LBB2_811
; %bb.806:                              ;   in Loop: Header=BB2_805 Depth=2
	v_mov_b32_e32 v53, v100
	s_and_saveexec_b32 s28, s27
	s_cbranch_execz .LBB2_810
; %bb.807:                              ;   in Loop: Header=BB2_805 Depth=2
	v_mov_b32_e32 v53, v97
	s_or_b32 s11, s7, s10
	s_delay_alu instid0(SALU_CYCLE_1)
	s_and_saveexec_b32 s29, s11
; %bb.808:                              ;   in Loop: Header=BB2_805 Depth=2
	v_cmp_gt_f16_e64 s11, v97, v100
	v_cmp_lt_u16_e32 vcc_lo, 0x7c00, v101
	s_delay_alu instid0(VALU_DEP_2)
	v_cndmask_b32_e64 v53, v100, v97, s11
	s_and_b32 s11, s7, vcc_lo
	s_delay_alu instid0(VALU_DEP_1) | instid1(SALU_CYCLE_1)
	v_cndmask_b32_e64 v53, v53, 0x7fff, s11
; %bb.809:                              ;   in Loop: Header=BB2_805 Depth=2
	s_or_b32 exec_lo, exec_lo, s29
.LBB2_810:                              ;   in Loop: Header=BB2_805 Depth=2
	s_delay_alu instid0(SALU_CYCLE_1)
	s_or_b32 exec_lo, exec_lo, s28
	s_mov_b32 s11, 0
.LBB2_811:                              ;   in Loop: Header=BB2_805 Depth=2
	s_delay_alu instid0(SALU_CYCLE_1)
	s_and_not1_b32 vcc_lo, exec_lo, s11
	s_cbranch_vccnz .LBB2_817
; %bb.812:                              ;   in Loop: Header=BB2_805 Depth=2
	s_and_saveexec_b32 s11, s27
	s_cbranch_execz .LBB2_816
; %bb.813:                              ;   in Loop: Header=BB2_805 Depth=2
	s_or_b32 s10, s7, s10
	s_delay_alu instid0(SALU_CYCLE_1)
	s_and_saveexec_b32 s27, s10
; %bb.814:                              ;   in Loop: Header=BB2_805 Depth=2
	v_cmp_gt_f16_e64 s10, v97, v100
	v_cmp_lt_u16_e32 vcc_lo, 0x7c00, v101
	s_delay_alu instid0(VALU_DEP_2)
	v_cndmask_b32_e64 v53, v97, v100, s10
	s_and_b32 s7, s7, vcc_lo
	s_delay_alu instid0(VALU_DEP_1) | instid1(SALU_CYCLE_1)
	v_cndmask_b32_e64 v97, v53, 0x7fff, s7
; %bb.815:                              ;   in Loop: Header=BB2_805 Depth=2
	s_or_b32 exec_lo, exec_lo, s27
	s_delay_alu instid0(VALU_DEP_1)
	v_mov_b32_e32 v100, v97
.LBB2_816:                              ;   in Loop: Header=BB2_805 Depth=2
	s_or_b32 exec_lo, exec_lo, s11
	s_delay_alu instid0(VALU_DEP_1)
	v_mov_b32_e32 v53, v100
.LBB2_817:                              ;   in Loop: Header=BB2_805 Depth=2
	s_waitcnt vmcnt(5) lgkmcnt(5)
	v_and_b32_e32 v97, 0x7fff, v98
	s_waitcnt vmcnt(2) lgkmcnt(2)
	v_and_b32_e32 v100, 0x7fff, v99
	s_mov_b32 s11, -1
	s_and_not1_b32 vcc_lo, exec_lo, s26
	v_cmp_lt_u16_e64 s7, 0x7c00, v97
	s_delay_alu instid0(VALU_DEP_2) | instskip(NEXT) | instid1(VALU_DEP_1)
	v_cmp_gt_u16_e64 s10, 0x7c01, v100
                                        ; implicit-def: $vgpr97
	s_and_b32 s27, s7, s10
	s_delay_alu instid0(SALU_CYCLE_1)
	s_xor_b32 s27, s27, -1
	s_cbranch_vccnz .LBB2_823
; %bb.818:                              ;   in Loop: Header=BB2_805 Depth=2
	v_mov_b32_e32 v97, v99
	s_and_saveexec_b32 s28, s27
	s_cbranch_execz .LBB2_822
; %bb.819:                              ;   in Loop: Header=BB2_805 Depth=2
	v_mov_b32_e32 v97, v98
	s_or_b32 s11, s7, s10
	s_delay_alu instid0(SALU_CYCLE_1)
	s_and_saveexec_b32 s29, s11
; %bb.820:                              ;   in Loop: Header=BB2_805 Depth=2
	v_cmp_gt_f16_e64 s11, v98, v99
	v_cmp_lt_u16_e32 vcc_lo, 0x7c00, v100
	s_delay_alu instid0(VALU_DEP_2)
	v_cndmask_b32_e64 v97, v99, v98, s11
	s_and_b32 s11, s7, vcc_lo
	s_delay_alu instid0(VALU_DEP_1) | instid1(SALU_CYCLE_1)
	v_cndmask_b32_e64 v97, v97, 0x7fff, s11
; %bb.821:                              ;   in Loop: Header=BB2_805 Depth=2
	s_or_b32 exec_lo, exec_lo, s29
.LBB2_822:                              ;   in Loop: Header=BB2_805 Depth=2
	s_delay_alu instid0(SALU_CYCLE_1)
	s_or_b32 exec_lo, exec_lo, s28
	s_mov_b32 s11, 0
.LBB2_823:                              ;   in Loop: Header=BB2_805 Depth=2
	s_delay_alu instid0(SALU_CYCLE_1)
	s_and_not1_b32 vcc_lo, exec_lo, s11
	s_cbranch_vccnz .LBB2_829
; %bb.824:                              ;   in Loop: Header=BB2_805 Depth=2
	s_and_saveexec_b32 s11, s27
	s_cbranch_execz .LBB2_828
; %bb.825:                              ;   in Loop: Header=BB2_805 Depth=2
	s_or_b32 s10, s7, s10
	s_delay_alu instid0(SALU_CYCLE_1)
	s_and_saveexec_b32 s27, s10
; %bb.826:                              ;   in Loop: Header=BB2_805 Depth=2
	v_cmp_gt_f16_e64 s10, v98, v99
	v_cmp_lt_u16_e32 vcc_lo, 0x7c00, v100
	s_delay_alu instid0(VALU_DEP_2)
	v_cndmask_b32_e64 v97, v98, v99, s10
	s_and_b32 s7, s7, vcc_lo
	s_delay_alu instid0(VALU_DEP_1) | instid1(SALU_CYCLE_1)
	v_cndmask_b32_e64 v98, v97, 0x7fff, s7
; %bb.827:                              ;   in Loop: Header=BB2_805 Depth=2
	s_or_b32 exec_lo, exec_lo, s27
	s_delay_alu instid0(VALU_DEP_1)
	v_mov_b32_e32 v99, v98
.LBB2_828:                              ;   in Loop: Header=BB2_805 Depth=2
	s_or_b32 exec_lo, exec_lo, s11
	s_delay_alu instid0(VALU_DEP_1)
	v_mov_b32_e32 v97, v99
.LBB2_829:                              ;   in Loop: Header=BB2_805 Depth=2
	v_and_b32_e32 v98, 0x7fff, v87
	s_waitcnt vmcnt(1) lgkmcnt(1)
	v_and_b32_e32 v99, 0x7fff, v96
	s_mov_b32 s11, -1
	s_and_not1_b32 vcc_lo, exec_lo, s26
	v_cmp_lt_u16_e64 s7, 0x7c00, v98
	s_delay_alu instid0(VALU_DEP_2) | instskip(NEXT) | instid1(VALU_DEP_1)
	v_cmp_gt_u16_e64 s10, 0x7c01, v99
                                        ; implicit-def: $vgpr98
	s_and_b32 s27, s7, s10
	s_delay_alu instid0(SALU_CYCLE_1)
	s_xor_b32 s27, s27, -1
	s_cbranch_vccnz .LBB2_835
; %bb.830:                              ;   in Loop: Header=BB2_805 Depth=2
	v_mov_b32_e32 v98, v96
	s_and_saveexec_b32 s28, s27
	s_cbranch_execz .LBB2_834
; %bb.831:                              ;   in Loop: Header=BB2_805 Depth=2
	v_mov_b32_e32 v98, v87
	s_or_b32 s11, s7, s10
	s_delay_alu instid0(SALU_CYCLE_1)
	s_and_saveexec_b32 s29, s11
; %bb.832:                              ;   in Loop: Header=BB2_805 Depth=2
	v_cmp_gt_f16_e64 s11, v87, v96
	v_cmp_lt_u16_e32 vcc_lo, 0x7c00, v99
	s_delay_alu instid0(VALU_DEP_2)
	v_cndmask_b32_e64 v98, v96, v87, s11
	s_and_b32 s11, s7, vcc_lo
	s_delay_alu instid0(VALU_DEP_1) | instid1(SALU_CYCLE_1)
	v_cndmask_b32_e64 v98, v98, 0x7fff, s11
; %bb.833:                              ;   in Loop: Header=BB2_805 Depth=2
	s_or_b32 exec_lo, exec_lo, s29
.LBB2_834:                              ;   in Loop: Header=BB2_805 Depth=2
	s_delay_alu instid0(SALU_CYCLE_1)
	s_or_b32 exec_lo, exec_lo, s28
	s_mov_b32 s11, 0
.LBB2_835:                              ;   in Loop: Header=BB2_805 Depth=2
	s_delay_alu instid0(SALU_CYCLE_1)
	s_and_not1_b32 vcc_lo, exec_lo, s11
	s_cbranch_vccnz .LBB2_841
; %bb.836:                              ;   in Loop: Header=BB2_805 Depth=2
	s_and_saveexec_b32 s11, s27
	s_cbranch_execz .LBB2_840
; %bb.837:                              ;   in Loop: Header=BB2_805 Depth=2
	s_or_b32 s10, s7, s10
	s_delay_alu instid0(SALU_CYCLE_1)
	s_and_saveexec_b32 s27, s10
; %bb.838:                              ;   in Loop: Header=BB2_805 Depth=2
	v_cmp_gt_f16_e64 s10, v87, v96
	v_cmp_lt_u16_e32 vcc_lo, 0x7c00, v99
	s_delay_alu instid0(VALU_DEP_2)
	v_cndmask_b32_e64 v87, v87, v96, s10
	s_and_b32 s7, s7, vcc_lo
	s_delay_alu instid0(VALU_DEP_1) | instid1(SALU_CYCLE_1)
	v_cndmask_b32_e64 v87, v87, 0x7fff, s7
; %bb.839:                              ;   in Loop: Header=BB2_805 Depth=2
	s_or_b32 exec_lo, exec_lo, s27
	s_delay_alu instid0(VALU_DEP_1)
	v_mov_b32_e32 v96, v87
.LBB2_840:                              ;   in Loop: Header=BB2_805 Depth=2
	s_or_b32 exec_lo, exec_lo, s11
	s_delay_alu instid0(VALU_DEP_1)
	v_mov_b32_e32 v98, v96
.LBB2_841:                              ;   in Loop: Header=BB2_805 Depth=2
	v_and_b32_e32 v96, 0x7fff, v51
	s_waitcnt vmcnt(0) lgkmcnt(0)
	v_and_b32_e32 v87, 0x7fff, v52
	s_mov_b32 s11, -1
	s_and_not1_b32 vcc_lo, exec_lo, s26
	v_cmp_lt_u16_e64 s7, 0x7c00, v96
	s_delay_alu instid0(VALU_DEP_2) | instskip(NEXT) | instid1(VALU_DEP_1)
	v_cmp_gt_u16_e64 s10, 0x7c01, v87
                                        ; implicit-def: $vgpr96
	s_and_b32 s27, s7, s10
	s_delay_alu instid0(SALU_CYCLE_1)
	s_xor_b32 s27, s27, -1
	s_cbranch_vccnz .LBB2_847
; %bb.842:                              ;   in Loop: Header=BB2_805 Depth=2
	v_mov_b32_e32 v96, v52
	s_and_saveexec_b32 s28, s27
	s_cbranch_execz .LBB2_846
; %bb.843:                              ;   in Loop: Header=BB2_805 Depth=2
	v_mov_b32_e32 v96, v51
	s_or_b32 s11, s7, s10
	s_delay_alu instid0(SALU_CYCLE_1)
	s_and_saveexec_b32 s29, s11
; %bb.844:                              ;   in Loop: Header=BB2_805 Depth=2
	v_cmp_gt_f16_e64 s11, v51, v52
	v_cmp_lt_u16_e32 vcc_lo, 0x7c00, v87
	s_delay_alu instid0(VALU_DEP_2)
	v_cndmask_b32_e64 v96, v52, v51, s11
	s_and_b32 s11, s7, vcc_lo
	s_delay_alu instid0(VALU_DEP_1) | instid1(SALU_CYCLE_1)
	v_cndmask_b32_e64 v96, v96, 0x7fff, s11
; %bb.845:                              ;   in Loop: Header=BB2_805 Depth=2
	s_or_b32 exec_lo, exec_lo, s29
.LBB2_846:                              ;   in Loop: Header=BB2_805 Depth=2
	s_delay_alu instid0(SALU_CYCLE_1)
	s_or_b32 exec_lo, exec_lo, s28
	s_mov_b32 s11, 0
.LBB2_847:                              ;   in Loop: Header=BB2_805 Depth=2
	s_delay_alu instid0(SALU_CYCLE_1)
	s_and_not1_b32 vcc_lo, exec_lo, s11
	s_cbranch_vccnz .LBB2_804
; %bb.848:                              ;   in Loop: Header=BB2_805 Depth=2
	s_and_saveexec_b32 s11, s27
	s_cbranch_execz .LBB2_803
; %bb.849:                              ;   in Loop: Header=BB2_805 Depth=2
	s_or_b32 s10, s7, s10
	s_delay_alu instid0(SALU_CYCLE_1)
	s_and_saveexec_b32 s27, s10
	s_cbranch_execz .LBB2_802
; %bb.850:                              ;   in Loop: Header=BB2_805 Depth=2
	v_cmp_gt_f16_e64 s10, v51, v52
	v_cmp_lt_u16_e32 vcc_lo, 0x7c00, v87
	s_delay_alu instid0(VALU_DEP_2)
	v_cndmask_b32_e64 v51, v51, v52, s10
	s_and_b32 s7, s7, vcc_lo
	s_delay_alu instid0(VALU_DEP_1) | instid1(SALU_CYCLE_1)
	v_cndmask_b32_e64 v51, v51, 0x7fff, s7
	s_branch .LBB2_802
.LBB2_851:                              ;   in Loop: Header=BB2_511 Depth=1
	s_or_b32 exec_lo, exec_lo, s25
.LBB2_852:                              ;   in Loop: Header=BB2_511 Depth=1
	s_delay_alu instid0(SALU_CYCLE_1) | instskip(SKIP_1) | instid1(VALU_DEP_1)
	s_or_b32 exec_lo, exec_lo, s24
	v_lshlrev_b32_e32 v10, 8, v50
	v_cmp_ne_u32_e32 vcc_lo, v86, v10
	s_and_b32 exec_lo, exec_lo, vcc_lo
	s_cbranch_execz .LBB2_869
; %bb.853:                              ;   in Loop: Header=BB2_511 Depth=1
	v_lshlrev_b32_e32 v11, 5, v48
	v_lshlrev_b32_e32 v12, 5, v49
	s_delay_alu instid0(VALU_DEP_2) | instskip(NEXT) | instid1(VALU_DEP_1)
	v_sub_nc_u32_e32 v11, v17, v11
	v_sub_nc_u32_e32 v11, v11, v12
	s_delay_alu instid0(VALU_DEP_1) | instskip(NEXT) | instid1(VALU_DEP_1)
	v_ashrrev_i32_e32 v12, 31, v11
	v_lshrrev_b32_e32 v12, 27, v12
	s_delay_alu instid0(VALU_DEP_1) | instskip(NEXT) | instid1(VALU_DEP_1)
	v_add_nc_u32_e32 v12, v11, v12
	v_and_b32_e32 v13, 0x7fffffe0, v12
	v_lshlrev_b32_e32 v12, 1, v12
	s_delay_alu instid0(VALU_DEP_2) | instskip(NEXT) | instid1(VALU_DEP_2)
	v_sub_nc_u32_e32 v11, v11, v13
	v_and_b32_e32 v12, 0xffffffc0, v12
	s_delay_alu instid0(VALU_DEP_2) | instskip(NEXT) | instid1(VALU_DEP_1)
	v_lshlrev_b32_e32 v11, 1, v11
	v_add3_u32 v10, v12, v11, v10
	s_delay_alu instid0(VALU_DEP_1) | instskip(NEXT) | instid1(VALU_DEP_1)
	v_sub_nc_u32_e32 v17, v86, v10
	v_cmp_lt_i32_e32 vcc_lo, 1, v17
	s_and_b32 exec_lo, exec_lo, vcc_lo
	s_cbranch_execz .LBB2_869
; %bb.854:                              ;   in Loop: Header=BB2_511 Depth=1
	s_cbranch_execnz .LBB2_1408
; %bb.855:                              ;   in Loop: Header=BB2_511 Depth=1
	ds_load_b128 v[11:14], v0
	ds_load_b64 v[48:49], v0
	v_add_nc_u32_e32 v15, v10, v16
	s_bitcmp1_b32 s23, 0
	s_mov_b32 s23, 0
	s_cselect_b32 s24, -1, 0
	s_delay_alu instid0(VALU_DEP_1) | instskip(SKIP_2) | instid1(VALU_DEP_2)
	v_ashrrev_i32_e32 v16, 31, v15
	s_waitcnt lgkmcnt(1)
	v_add_co_u32 v10, vcc_lo, v11, v15
	v_add_co_ci_u32_e32 v11, vcc_lo, v12, v16, vcc_lo
	v_add_co_u32 v12, vcc_lo, v13, v15
	v_add_co_ci_u32_e32 v13, vcc_lo, v14, v16, vcc_lo
	s_waitcnt lgkmcnt(0)
	v_add_co_u32 v14, vcc_lo, v48, v15
	v_add_co_ci_u32_e32 v15, vcc_lo, v49, v16, vcc_lo
	s_branch .LBB2_859
.LBB2_856:                              ;   in Loop: Header=BB2_859 Depth=2
	s_or_b32 exec_lo, exec_lo, s25
	s_delay_alu instid0(VALU_DEP_1)
	v_mov_b32_e32 v48, v16
.LBB2_857:                              ;   in Loop: Header=BB2_859 Depth=2
	s_or_b32 exec_lo, exec_lo, s11
	s_delay_alu instid0(VALU_DEP_1)
	v_mov_b32_e32 v50, v48
.LBB2_858:                              ;   in Loop: Header=BB2_859 Depth=2
	v_add_co_u32 v10, vcc_lo, v10, v83
	v_sub_nc_u32_e32 v17, v17, v69
	v_add_co_ci_u32_e32 v11, vcc_lo, v11, v84, vcc_lo
	v_add_co_u32 v12, vcc_lo, v12, v83
	v_add_co_ci_u32_e32 v13, vcc_lo, v13, v84, vcc_lo
	flat_store_b16 v[14:15], v50 glc slc dlc
	v_cmp_gt_i32_e32 vcc_lo, 2, v17
	v_add_co_u32 v14, s7, v14, v83
	s_delay_alu instid0(VALU_DEP_1) | instskip(SKIP_1) | instid1(SALU_CYCLE_1)
	v_add_co_ci_u32_e64 v15, s7, v15, v84, s7
	s_or_b32 s23, vcc_lo, s23
	s_and_not1_b32 exec_lo, exec_lo, s23
	s_cbranch_execz .LBB2_869
.LBB2_859:                              ;   Parent Loop BB2_511 Depth=1
                                        ; =>  This Inner Loop Header: Depth=2
	flat_load_u16 v16, v[10:11] slc dlc
	flat_load_u16 v48, v[12:13] slc dlc
	s_mov_b32 s11, -1
	s_and_b32 vcc_lo, exec_lo, s24
	s_waitcnt vmcnt(1) lgkmcnt(1)
	v_and_b32_e32 v50, 0x7fff, v16
	s_waitcnt vmcnt(0) lgkmcnt(0)
	v_and_b32_e32 v49, 0x7fff, v48
	s_delay_alu instid0(VALU_DEP_2) | instskip(NEXT) | instid1(VALU_DEP_2)
	v_cmp_lt_u16_e64 s7, 0x7c00, v50
	v_cmp_gt_u16_e64 s10, 0x7c01, v49
                                        ; implicit-def: $vgpr50
	s_delay_alu instid0(VALU_DEP_1) | instskip(NEXT) | instid1(SALU_CYCLE_1)
	s_and_b32 s25, s7, s10
	s_xor_b32 s25, s25, -1
	s_cbranch_vccz .LBB2_865
; %bb.860:                              ;   in Loop: Header=BB2_859 Depth=2
	v_mov_b32_e32 v50, v48
	s_and_saveexec_b32 s26, s25
	s_cbranch_execz .LBB2_864
; %bb.861:                              ;   in Loop: Header=BB2_859 Depth=2
	v_mov_b32_e32 v50, v16
	s_or_b32 s11, s7, s10
	s_delay_alu instid0(SALU_CYCLE_1)
	s_and_saveexec_b32 s27, s11
; %bb.862:                              ;   in Loop: Header=BB2_859 Depth=2
	v_cmp_gt_f16_e64 s11, v16, v48
	v_cmp_lt_u16_e32 vcc_lo, 0x7c00, v49
	s_delay_alu instid0(VALU_DEP_2)
	v_cndmask_b32_e64 v50, v48, v16, s11
	s_and_b32 s11, s7, vcc_lo
	s_delay_alu instid0(VALU_DEP_1) | instid1(SALU_CYCLE_1)
	v_cndmask_b32_e64 v50, v50, 0x7fff, s11
; %bb.863:                              ;   in Loop: Header=BB2_859 Depth=2
	s_or_b32 exec_lo, exec_lo, s27
.LBB2_864:                              ;   in Loop: Header=BB2_859 Depth=2
	s_delay_alu instid0(SALU_CYCLE_1)
	s_or_b32 exec_lo, exec_lo, s26
	s_mov_b32 s11, 0
.LBB2_865:                              ;   in Loop: Header=BB2_859 Depth=2
	s_delay_alu instid0(SALU_CYCLE_1)
	s_and_not1_b32 vcc_lo, exec_lo, s11
	s_cbranch_vccnz .LBB2_858
; %bb.866:                              ;   in Loop: Header=BB2_859 Depth=2
	s_and_saveexec_b32 s11, s25
	s_cbranch_execz .LBB2_857
; %bb.867:                              ;   in Loop: Header=BB2_859 Depth=2
	s_or_b32 s10, s7, s10
	s_delay_alu instid0(SALU_CYCLE_1)
	s_and_saveexec_b32 s25, s10
	s_cbranch_execz .LBB2_856
; %bb.868:                              ;   in Loop: Header=BB2_859 Depth=2
	v_cmp_gt_f16_e64 s10, v16, v48
	v_cmp_lt_u16_e32 vcc_lo, 0x7c00, v49
	s_delay_alu instid0(VALU_DEP_2)
	v_cndmask_b32_e64 v16, v16, v48, s10
	s_and_b32 s7, s7, vcc_lo
	s_delay_alu instid0(VALU_DEP_1) | instid1(SALU_CYCLE_1)
	v_cndmask_b32_e64 v16, v16, 0x7fff, s7
	s_branch .LBB2_856
.LBB2_869:                              ;   in Loop: Header=BB2_511 Depth=1
	s_or_b32 exec_lo, exec_lo, s12
	v_cmp_ne_u32_e64 s7, 0, v32
.LBB2_870:                              ;   in Loop: Header=BB2_511 Depth=1
	s_and_saveexec_b32 s10, s2
	s_cbranch_execz .LBB2_892
; %bb.871:                              ;   in Loop: Header=BB2_511 Depth=1
	s_and_saveexec_b32 s11, s3
	s_delay_alu instid0(SALU_CYCLE_1)
	s_xor_b32 s11, exec_lo, s11
	s_cbranch_execz .LBB2_889
; %bb.872:                              ;   in Loop: Header=BB2_511 Depth=1
	s_and_saveexec_b32 s12, s4
	s_cbranch_execz .LBB2_888
; %bb.873:                              ;   in Loop: Header=BB2_511 Depth=1
	s_mov_b32 s24, exec_lo
	s_mov_b32 s23, exec_lo
	v_mbcnt_lo_u32_b32 v10, s24, 0
	s_waitcnt lgkmcnt(0)
	s_waitcnt_vscnt null, 0x0
	buffer_gl1_inv
	buffer_gl0_inv
	v_cmpx_eq_u32_e32 0, v10
	s_cbranch_execz .LBB2_875
; %bb.874:                              ;   in Loop: Header=BB2_511 Depth=1
	s_bcnt1_i32_b32 s24, s24
	s_delay_alu instid0(SALU_CYCLE_1)
	v_mov_b32_e32 v32, s24
	ds_add_u64 v0, v[32:33]
	s_cbranch_execnz .LBB2_1400
.LBB2_875:                              ;   in Loop: Header=BB2_511 Depth=1
	s_or_b32 exec_lo, exec_lo, s23
	s_cbranch_execnz .LBB2_1380
; %bb.876:                              ;   in Loop: Header=BB2_511 Depth=1
	ds_load_b64 v[10:11], v0
	v_add_co_u32 v26, vcc_lo, v26, v54
	v_add_co_ci_u32_e32 v27, vcc_lo, 0, v27, vcc_lo
	s_mov_b32 s23, exec_lo
	s_waitcnt lgkmcnt(0)
	s_delay_alu instid0(VALU_DEP_1)
	v_cmpx_lt_u64_e64 v[10:11], v[26:27]
	s_cbranch_execz .LBB2_887
; %bb.877:                              ;   in Loop: Header=BB2_511 Depth=1
	s_mov_b32 s24, 0
	s_mov_b32 s27, 0
                                        ; implicit-def: $sgpr25
                                        ; implicit-def: $sgpr26
	s_branch .LBB2_879
.LBB2_878:                              ;   in Loop: Header=BB2_879 Depth=2
	s_or_b32 exec_lo, exec_lo, vcc_hi
	s_delay_alu instid0(SALU_CYCLE_1) | instskip(NEXT) | instid1(SALU_CYCLE_1)
	s_and_b32 s28, exec_lo, s29
	s_or_b32 s24, s28, s24
	s_and_not1_b32 s25, s25, exec_lo
	s_and_b32 s28, s26, exec_lo
	s_delay_alu instid0(SALU_CYCLE_1)
	s_or_b32 s25, s25, s28
	s_and_not1_b32 exec_lo, exec_lo, s24
	s_cbranch_execz .LBB2_885
.LBB2_879:                              ;   Parent Loop BB2_511 Depth=1
                                        ; =>  This Inner Loop Header: Depth=2
	s_add_i32 s27, s27, 1
                                        ; implicit-def: $sgpr29
	s_delay_alu instid0(SALU_CYCLE_1) | instskip(SKIP_1) | instid1(SALU_CYCLE_1)
	s_cmpk_lg_i32 s27, 0x2710
	s_cselect_b32 s28, -1, 0
	s_and_b32 vcc_lo, exec_lo, s28
	s_cbranch_vccz .LBB2_883
.LBB2_880:                              ;   in Loop: Header=BB2_879 Depth=2
	s_and_not1_b32 s26, s26, exec_lo
	s_and_b32 vcc_lo, s29, exec_lo
	s_mov_b32 s29, -1
	s_or_b32 s26, s26, vcc_lo
	s_and_saveexec_b32 vcc_hi, s28
	s_cbranch_execz .LBB2_878
; %bb.881:                              ;   in Loop: Header=BB2_879 Depth=2
	s_sleep 1
	s_cbranch_execnz .LBB2_1416
; %bb.882:                              ;   in Loop: Header=BB2_879 Depth=2
	ds_load_b64 v[10:11], v0
	s_and_not1_b32 s26, s26, exec_lo
	s_waitcnt lgkmcnt(0)
	v_cmp_ge_u64_e32 vcc_lo, v[10:11], v[26:27]
	s_or_not1_b32 s29, vcc_lo, exec_lo
	s_branch .LBB2_878
.LBB2_883:                              ;   in Loop: Header=BB2_879 Depth=2
	s_cbranch_execnz .LBB2_1422
; %bb.884:                              ;   in Loop: Header=BB2_879 Depth=2
	ds_load_b64 v[10:11], v0
	s_and_not1_b32 s28, s28, exec_lo
	s_mov_b32 s27, 0
	s_mov_b32 s29, -1
	s_waitcnt lgkmcnt(0)
	flat_load_b32 v10, v[10:11] glc
	s_waitcnt vmcnt(0) lgkmcnt(0)
	buffer_gl1_inv
	buffer_gl0_inv
	v_cmp_eq_u32_e32 vcc_lo, 0, v10
	s_and_b32 vcc_lo, vcc_lo, exec_lo
	s_delay_alu instid0(SALU_CYCLE_1)
	s_or_b32 s28, s28, vcc_lo
	s_branch .LBB2_880
.LBB2_885:                              ;   in Loop: Header=BB2_511 Depth=1
	s_or_b32 exec_lo, exec_lo, s24
	s_and_saveexec_b32 s24, s25
	s_delay_alu instid0(SALU_CYCLE_1)
	s_xor_b32 s24, exec_lo, s24
	s_cbranch_execz .LBB2_887
; %bb.886:                              ;   in Loop: Header=BB2_511 Depth=1
	ds_store_b32 v0, v85
	s_cbranch_execnz .LBB2_1446
.LBB2_887:                              ;   in Loop: Header=BB2_511 Depth=1
	s_or_b32 exec_lo, exec_lo, s23
	;;#ASMSTART
	s_wakeup
	;;#ASMEND
.LBB2_888:                              ;   in Loop: Header=BB2_511 Depth=1
	s_or_b32 exec_lo, exec_lo, s12
.LBB2_889:                              ;   in Loop: Header=BB2_511 Depth=1
	s_and_not1_saveexec_b32 s11, s11
	s_cbranch_execz .LBB2_891
; %bb.890:                              ;   in Loop: Header=BB2_511 Depth=1
	s_waitcnt lgkmcnt(0)
	s_waitcnt_vscnt null, 0x0
	buffer_gl1_inv
	buffer_gl0_inv
	s_barrier
.LBB2_891:                              ;   in Loop: Header=BB2_511 Depth=1
	s_or_b32 exec_lo, exec_lo, s11
.LBB2_892:                              ;   in Loop: Header=BB2_511 Depth=1
	s_delay_alu instid0(SALU_CYCLE_1) | instskip(SKIP_1) | instid1(VALU_DEP_1)
	s_or_b32 exec_lo, exec_lo, s10
	v_and_b32_e32 v10, 16, v30
	v_cmp_ne_u32_e32 vcc_lo, 0, v10
	s_and_b32 s10, vcc_lo, s7
	s_delay_alu instid0(SALU_CYCLE_1)
	s_and_saveexec_b32 s7, s10
	s_cbranch_execz .LBB2_894
; %bb.893:                              ;   in Loop: Header=BB2_511 Depth=1
	s_waitcnt lgkmcnt(0)
	s_waitcnt_vscnt null, 0x0
	buffer_gl1_inv
	buffer_gl0_inv
.LBB2_894:                              ;   in Loop: Header=BB2_511 Depth=1
	s_or_b32 exec_lo, exec_lo, s7
	v_and_b32_e32 v10, 32, v30
	s_mov_b32 s7, exec_lo
	s_delay_alu instid0(VALU_DEP_1)
	v_cmpx_ne_u32_e32 0, v10
	s_cbranch_execz .LBB2_896
; %bb.895:                              ;   in Loop: Header=BB2_511 Depth=1
	v_add_co_u32 v8, vcc_lo, v8, 1
	v_add_co_ci_u32_e32 v9, vcc_lo, 0, v9, vcc_lo
	s_waitcnt lgkmcnt(0)
	s_waitcnt_vscnt null, 0x0
	flat_store_b64 v[20:21], v[8:9]
.LBB2_896:                              ;   in Loop: Header=BB2_511 Depth=1
	s_or_b32 exec_lo, exec_lo, s7
	v_mov_b32_e32 v14, v39
.LBB2_897:                              ;   in Loop: Header=BB2_511 Depth=1
	s_or_b32 exec_lo, exec_lo, s22
	s_and_saveexec_b32 s10, s21
	s_cbranch_execz .LBB2_950
; %bb.898:                              ;   in Loop: Header=BB2_511 Depth=1
	v_and_b32_e32 v10, 4, v30
	s_mov_b32 s11, -1
	s_mov_b32 s7, exec_lo
	s_delay_alu instid0(VALU_DEP_1)
	v_cmpx_ne_u32_e32 0, v10
	s_cbranch_execz .LBB2_912
; %bb.899:                              ;   in Loop: Header=BB2_511 Depth=1
	v_add_co_u32 v10, vcc_lo, v8, 1
	v_add_co_ci_u32_e32 v11, vcc_lo, 0, v9, vcc_lo
	v_mov_b32_e32 v12, 1
	s_mov_b32 s11, exec_lo
	s_delay_alu instid0(VALU_DEP_2)
	v_cmpx_lt_u64_e64 v[24:25], v[10:11]
	s_cbranch_execz .LBB2_911
; %bb.900:                              ;   in Loop: Header=BB2_511 Depth=1
	v_mov_b32_e32 v12, 0
	s_mov_b32 s12, 0
                                        ; implicit-def: $sgpr21
	s_branch .LBB2_904
.LBB2_901:                              ;   in Loop: Header=BB2_904 Depth=2
	s_or_b32 exec_lo, exec_lo, s25
	v_mov_b32_e32 v13, 0
	s_or_not1_b32 s24, s24, exec_lo
.LBB2_902:                              ;   in Loop: Header=BB2_904 Depth=2
	s_or_b32 exec_lo, exec_lo, s23
	s_delay_alu instid0(VALU_DEP_1) | instskip(SKIP_2) | instid1(SALU_CYCLE_1)
	v_mov_b32_e32 v12, v13
	s_and_not1_b32 s21, s21, exec_lo
	s_and_b32 s23, s24, exec_lo
	s_or_b32 s21, s21, s23
.LBB2_903:                              ;   in Loop: Header=BB2_904 Depth=2
	s_or_b32 exec_lo, exec_lo, s22
	s_waitcnt vmcnt(0) lgkmcnt(0)
	v_cmp_ge_u64_e32 vcc_lo, v[24:25], v[10:11]
	s_xor_b32 s22, s21, -1
	s_delay_alu instid0(SALU_CYCLE_1) | instskip(NEXT) | instid1(SALU_CYCLE_1)
	s_or_b32 s22, s22, vcc_lo
	s_and_b32 s22, exec_lo, s22
	s_delay_alu instid0(SALU_CYCLE_1) | instskip(NEXT) | instid1(SALU_CYCLE_1)
	s_or_b32 s12, s22, s12
	s_and_not1_b32 exec_lo, exec_lo, s12
	s_cbranch_execz .LBB2_910
.LBB2_904:                              ;   Parent Loop BB2_511 Depth=1
                                        ; =>  This Inner Loop Header: Depth=2
	s_sleep 1
	flat_load_b64 v[24:25], v[20:21] glc
	v_and_b32_e32 v13, 64, v30
	s_and_not1_b32 s21, s21, exec_lo
	s_mov_b32 s22, exec_lo
	s_delay_alu instid0(VALU_DEP_1)
	v_cmpx_eq_u32_e32 0, v13
	s_cbranch_execz .LBB2_903
; %bb.905:                              ;   in Loop: Header=BB2_904 Depth=2
	v_add_nc_u32_e32 v13, 1, v12
	s_mov_b32 s24, -1
	s_mov_b32 s23, exec_lo
	v_cmpx_lt_i32_e32 0x270e, v12
	s_cbranch_execz .LBB2_902
; %bb.906:                              ;   in Loop: Header=BB2_904 Depth=2
	s_cbranch_execnz .LBB2_1272
; %bb.907:                              ;   in Loop: Header=BB2_904 Depth=2
	ds_load_b64 v[12:13], v0
	s_mov_b32 s25, exec_lo
	s_waitcnt vmcnt(0) lgkmcnt(0)
	s_waitcnt_vscnt null, 0x0
	flat_load_b32 v12, v[12:13] glc
	s_waitcnt vmcnt(0) lgkmcnt(0)
	buffer_gl1_inv
	buffer_gl0_inv
	v_cmpx_ne_u32_e32 0, v12
	s_cbranch_execz .LBB2_901
; %bb.908:                              ;   in Loop: Header=BB2_904 Depth=2
	ds_store_b32 v0, v12
	s_cbranch_execnz .LBB2_1306
; %bb.909:                              ;   in Loop: Header=BB2_904 Depth=2
	v_or_b32_e32 v30, 64, v30
	s_xor_b32 s24, exec_lo, -1
	s_branch .LBB2_901
.LBB2_910:                              ;   in Loop: Header=BB2_511 Depth=1
	s_or_b32 exec_lo, exec_lo, s12
	v_and_b32_e32 v12, 4, v30
.LBB2_911:                              ;   in Loop: Header=BB2_511 Depth=1
	s_or_b32 exec_lo, exec_lo, s11
	s_delay_alu instid0(VALU_DEP_1)
	v_cmp_eq_u32_e32 vcc_lo, 0, v12
	;;#ASMSTART
	s_wakeup
	;;#ASMEND
	s_or_not1_b32 s11, vcc_lo, exec_lo
.LBB2_912:                              ;   in Loop: Header=BB2_511 Depth=1
	s_or_b32 exec_lo, exec_lo, s7
	s_xor_b32 s7, s11, -1
	s_delay_alu instid0(SALU_CYCLE_1)
	s_and_saveexec_b32 s11, s7
	s_cbranch_execz .LBB2_922
; %bb.913:                              ;   in Loop: Header=BB2_511 Depth=1
	v_and_b32_e32 v10, 0x100, v30
	v_and_b32_e32 v15, 7, v8
	s_mov_b32 s7, -1
	s_delay_alu instid0(VALU_DEP_2)
	v_cmp_ne_u32_e32 vcc_lo, 0, v10
                                        ; implicit-def: $vgpr10_vgpr11
	s_and_saveexec_b32 s12, vcc_lo
	s_cbranch_execz .LBB2_917
; %bb.914:                              ;   in Loop: Header=BB2_511 Depth=1
	v_mad_u64_u32 v[12:13], null, v15, 24, v[6:7]
	flat_load_b32 v10, v[12:13]
	s_waitcnt vmcnt(0) lgkmcnt(0)
	v_cmp_ne_u32_e32 vcc_lo, 1, v10
	v_cmp_eq_u32_e64 s7, 1, v10
                                        ; implicit-def: $vgpr10_vgpr11
	s_delay_alu instid0(VALU_DEP_1)
	s_and_saveexec_b32 s21, s7
	s_cbranch_execz .LBB2_916
; %bb.915:                              ;   in Loop: Header=BB2_511 Depth=1
	flat_load_b32 v10, v[12:13] offset:4 glc
	s_waitcnt vmcnt(0) lgkmcnt(0)
	v_ashrrev_i32_e32 v11, 31, v10
	s_delay_alu instid0(VALU_DEP_1)
	v_lshrrev_b64 v[10:11], 1, v[10:11]
.LBB2_916:                              ;   in Loop: Header=BB2_511 Depth=1
	s_or_b32 exec_lo, exec_lo, s21
	s_delay_alu instid0(SALU_CYCLE_1)
	s_or_not1_b32 s7, vcc_lo, exec_lo
.LBB2_917:                              ;   in Loop: Header=BB2_511 Depth=1
	s_or_b32 exec_lo, exec_lo, s12
	s_and_saveexec_b32 s12, s7
; %bb.918:                              ;   in Loop: Header=BB2_511 Depth=1
	v_mad_i64_i32 v[10:11], null, v15, v65, 0
; %bb.919:                              ;   in Loop: Header=BB2_511 Depth=1
	s_or_b32 exec_lo, exec_lo, s12
	s_delay_alu instid0(VALU_DEP_1) | instskip(SKIP_2) | instid1(VALU_DEP_2)
	v_lshlrev_b64 v[10:11], 1, v[10:11]
	v_and_b32_e32 v12, 0x2000, v30
	s_mov_b32 s7, exec_lo
	v_add_co_u32 v10, vcc_lo, v22, v10
	s_delay_alu instid0(VALU_DEP_3)
	v_add_co_ci_u32_e32 v11, vcc_lo, v23, v11, vcc_lo
	ds_store_b64 v0, v[10:11] offset:728
	v_cmpx_ne_u32_e32 0, v12
	s_cbranch_execz .LBB2_921
; %bb.920:                              ;   in Loop: Header=BB2_511 Depth=1
	ds_load_b64 v[10:11], v0 offset:584
	s_waitcnt lgkmcnt(0)
	v_add_co_u32 v10, vcc_lo, v10, 1
	v_add_co_ci_u32_e32 v11, vcc_lo, 0, v11, vcc_lo
	ds_store_b64 v0, v[10:11] offset:584
.LBB2_921:                              ;   in Loop: Header=BB2_511 Depth=1
	s_or_b32 exec_lo, exec_lo, s7
	v_add_co_u32 v8, vcc_lo, v8, 1
	v_add_co_ci_u32_e32 v9, vcc_lo, 0, v9, vcc_lo
.LBB2_922:                              ;   in Loop: Header=BB2_511 Depth=1
	s_or_b32 exec_lo, exec_lo, s11
	s_and_saveexec_b32 s7, s2
	s_cbranch_execz .LBB2_944
; %bb.923:                              ;   in Loop: Header=BB2_511 Depth=1
	s_and_saveexec_b32 s11, s3
	s_delay_alu instid0(SALU_CYCLE_1)
	s_xor_b32 s11, exec_lo, s11
	s_cbranch_execz .LBB2_941
; %bb.924:                              ;   in Loop: Header=BB2_511 Depth=1
	s_and_saveexec_b32 s12, s4
	s_cbranch_execz .LBB2_940
; %bb.925:                              ;   in Loop: Header=BB2_511 Depth=1
	s_mov_b32 s22, exec_lo
	s_mov_b32 s21, exec_lo
	v_mbcnt_lo_u32_b32 v10, s22, 0
	s_waitcnt lgkmcnt(0)
	s_waitcnt_vscnt null, 0x0
	buffer_gl1_inv
	buffer_gl0_inv
	v_cmpx_eq_u32_e32 0, v10
	s_cbranch_execz .LBB2_927
; %bb.926:                              ;   in Loop: Header=BB2_511 Depth=1
	s_bcnt1_i32_b32 s22, s22
	s_delay_alu instid0(SALU_CYCLE_1)
	v_mov_b32_e32 v32, s22
	ds_add_u64 v0, v[32:33]
	s_cbranch_execnz .LBB2_1322
.LBB2_927:                              ;   in Loop: Header=BB2_511 Depth=1
	s_or_b32 exec_lo, exec_lo, s21
	s_cbranch_execnz .LBB2_1308
; %bb.928:                              ;   in Loop: Header=BB2_511 Depth=1
	ds_load_b64 v[10:11], v0
	v_add_co_u32 v26, vcc_lo, v26, v54
	v_add_co_ci_u32_e32 v27, vcc_lo, 0, v27, vcc_lo
	s_mov_b32 s21, exec_lo
	s_waitcnt lgkmcnt(0)
	s_delay_alu instid0(VALU_DEP_1)
	v_cmpx_lt_u64_e64 v[10:11], v[26:27]
	s_cbranch_execz .LBB2_939
; %bb.929:                              ;   in Loop: Header=BB2_511 Depth=1
	s_mov_b32 s22, 0
	s_mov_b32 s25, 0
                                        ; implicit-def: $sgpr23
                                        ; implicit-def: $sgpr24
	s_branch .LBB2_931
.LBB2_930:                              ;   in Loop: Header=BB2_931 Depth=2
	s_or_b32 exec_lo, exec_lo, s28
	s_delay_alu instid0(SALU_CYCLE_1) | instskip(NEXT) | instid1(SALU_CYCLE_1)
	s_and_b32 s26, exec_lo, s27
	s_or_b32 s22, s26, s22
	s_and_not1_b32 s23, s23, exec_lo
	s_and_b32 s26, s24, exec_lo
	s_delay_alu instid0(SALU_CYCLE_1)
	s_or_b32 s23, s23, s26
	s_and_not1_b32 exec_lo, exec_lo, s22
	s_cbranch_execz .LBB2_937
.LBB2_931:                              ;   Parent Loop BB2_511 Depth=1
                                        ; =>  This Inner Loop Header: Depth=2
	s_add_i32 s25, s25, 1
                                        ; implicit-def: $sgpr27
	s_delay_alu instid0(SALU_CYCLE_1) | instskip(SKIP_1) | instid1(SALU_CYCLE_1)
	s_cmpk_lg_i32 s25, 0x2710
	s_cselect_b32 s26, -1, 0
	s_and_b32 vcc_lo, exec_lo, s26
	s_cbranch_vccz .LBB2_935
.LBB2_932:                              ;   in Loop: Header=BB2_931 Depth=2
	s_and_not1_b32 s24, s24, exec_lo
	s_and_b32 s28, s27, exec_lo
	s_mov_b32 s27, -1
	s_or_b32 s24, s24, s28
	s_and_saveexec_b32 s28, s26
	s_cbranch_execz .LBB2_930
; %bb.933:                              ;   in Loop: Header=BB2_931 Depth=2
	s_sleep 1
	s_cbranch_execnz .LBB2_1358
; %bb.934:                              ;   in Loop: Header=BB2_931 Depth=2
	ds_load_b64 v[10:11], v0
	s_and_not1_b32 s24, s24, exec_lo
	s_waitcnt lgkmcnt(0)
	v_cmp_ge_u64_e32 vcc_lo, v[10:11], v[26:27]
	s_or_not1_b32 s27, vcc_lo, exec_lo
	s_branch .LBB2_930
.LBB2_935:                              ;   in Loop: Header=BB2_931 Depth=2
	s_cbranch_execnz .LBB2_1376
; %bb.936:                              ;   in Loop: Header=BB2_931 Depth=2
	ds_load_b64 v[10:11], v0
	s_and_not1_b32 s26, s26, exec_lo
	s_mov_b32 s25, 0
	s_mov_b32 s27, -1
	s_waitcnt lgkmcnt(0)
	flat_load_b32 v10, v[10:11] glc
	s_waitcnt vmcnt(0) lgkmcnt(0)
	buffer_gl1_inv
	buffer_gl0_inv
	v_cmp_eq_u32_e32 vcc_lo, 0, v10
	s_and_b32 s28, vcc_lo, exec_lo
	s_delay_alu instid0(SALU_CYCLE_1)
	s_or_b32 s26, s26, s28
	s_branch .LBB2_932
.LBB2_937:                              ;   in Loop: Header=BB2_511 Depth=1
	s_or_b32 exec_lo, exec_lo, s22
	s_and_saveexec_b32 s22, s23
	s_delay_alu instid0(SALU_CYCLE_1)
	s_xor_b32 s22, exec_lo, s22
	s_cbranch_execz .LBB2_939
; %bb.938:                              ;   in Loop: Header=BB2_511 Depth=1
	ds_store_b32 v0, v85
	s_cbranch_execnz .LBB2_1436
.LBB2_939:                              ;   in Loop: Header=BB2_511 Depth=1
	s_or_b32 exec_lo, exec_lo, s21
	;;#ASMSTART
	s_wakeup
	;;#ASMEND
.LBB2_940:                              ;   in Loop: Header=BB2_511 Depth=1
	s_or_b32 exec_lo, exec_lo, s12
.LBB2_941:                              ;   in Loop: Header=BB2_511 Depth=1
	s_and_not1_saveexec_b32 s11, s11
	s_cbranch_execz .LBB2_943
; %bb.942:                              ;   in Loop: Header=BB2_511 Depth=1
	s_waitcnt lgkmcnt(0)
	s_waitcnt_vscnt null, 0x0
	buffer_gl1_inv
	buffer_gl0_inv
	s_barrier
.LBB2_943:                              ;   in Loop: Header=BB2_511 Depth=1
	s_or_b32 exec_lo, exec_lo, s11
.LBB2_944:                              ;   in Loop: Header=BB2_511 Depth=1
	s_delay_alu instid0(SALU_CYCLE_1)
	s_or_b32 exec_lo, exec_lo, s7
	s_cbranch_execnz .LBB2_1243
; %bb.945:                              ;   in Loop: Header=BB2_511 Depth=1
	ds_load_b32 v10, v0
	v_sub_nc_u32_e32 v11, v38, v14
	s_delay_alu instid0(VALU_DEP_1) | instskip(NEXT) | instid1(VALU_DEP_1)
	v_min_i32_e32 v11, v39, v11
	v_cmp_lt_i32_e32 vcc_lo, 0, v11
	s_waitcnt lgkmcnt(0)
	v_readfirstlane_b32 s7, v10
	v_and_b32_e32 v10, 16, v30
	s_delay_alu instid0(VALU_DEP_2) | instskip(NEXT) | instid1(VALU_DEP_1)
	s_cmp_eq_u32 s7, 0
	v_cmp_ne_u32_e64 s7, 0, v10
	s_cselect_b32 s11, -1, 0
	s_delay_alu instid0(SALU_CYCLE_1)
	s_and_b32 s11, vcc_lo, s11
	s_delay_alu instid0(VALU_DEP_1) | instid1(SALU_CYCLE_1)
	s_and_b32 s11, s7, s11
	s_delay_alu instid0(SALU_CYCLE_1)
	s_and_saveexec_b32 s7, s11
	s_cbranch_execz .LBB2_947
; %bb.946:                              ;   in Loop: Header=BB2_511 Depth=1
	s_waitcnt_vscnt null, 0x0
	buffer_gl1_inv
	buffer_gl0_inv
.LBB2_947:                              ;   in Loop: Header=BB2_511 Depth=1
	s_or_b32 exec_lo, exec_lo, s7
	v_and_b32_e32 v10, 32, v30
	s_mov_b32 s7, exec_lo
	s_delay_alu instid0(VALU_DEP_1)
	v_cmpx_ne_u32_e32 0, v10
	s_cbranch_execz .LBB2_949
; %bb.948:                              ;   in Loop: Header=BB2_511 Depth=1
	v_add_co_u32 v8, vcc_lo, v8, 1
	v_add_co_ci_u32_e32 v9, vcc_lo, 0, v9, vcc_lo
	s_waitcnt_vscnt null, 0x0
	flat_store_b64 v[20:21], v[8:9]
.LBB2_949:                              ;   in Loop: Header=BB2_511 Depth=1
	s_or_b32 exec_lo, exec_lo, s7
.LBB2_950:                              ;   in Loop: Header=BB2_511 Depth=1
	s_delay_alu instid0(SALU_CYCLE_1) | instskip(SKIP_2) | instid1(VALU_DEP_1)
	s_or_b32 exec_lo, exec_lo, s10
	v_add_co_u32 v36, vcc_lo, v36, v28
	v_add_co_ci_u32_e32 v37, vcc_lo, 0, v37, vcc_lo
	v_cmp_ge_u64_e32 vcc_lo, v[36:37], v[4:5]
	s_or_b32 s18, vcc_lo, s18
	s_delay_alu instid0(SALU_CYCLE_1)
	s_and_not1_b32 exec_lo, exec_lo, s18
	s_cbranch_execnz .LBB2_511
; %bb.951:
	s_or_b32 exec_lo, exec_lo, s18
.LBB2_952:
	s_delay_alu instid0(SALU_CYCLE_1)
	s_or_b32 exec_lo, exec_lo, s14
.LBB2_953:
	s_delay_alu instid0(SALU_CYCLE_1)
	s_or_b32 exec_lo, exec_lo, s13
                                        ; implicit-def: $vgpr34_vgpr35
                                        ; implicit-def: $vgpr4_vgpr5
                                        ; implicit-def: $vgpr32_vgpr33
                                        ; implicit-def: $vgpr65
                                        ; implicit-def: $vgpr24_vgpr25
                                        ; implicit-def: $vgpr22_vgpr23
                                        ; implicit-def: $vgpr20_vgpr21
                                        ; implicit-def: $vgpr0
                                        ; implicit-def: $vgpr37
                                        ; implicit-def: $vgpr28_vgpr29
.LBB2_954:
	s_and_not1_saveexec_b32 s12, s17
	s_cbranch_execz .LBB2_1155
; %bb.955:
	v_mov_b32_e32 v26, 0
	v_mov_b32_e32 v27, 0
	s_mov_b32 s13, exec_lo
	v_cmpx_ne_u64_e32 0, v[4:5]
	s_cbranch_execz .LBB2_1154
; %bb.956:
	v_cmp_ge_i32_e64 s1, v0, v1
	s_cbranch_execnz .LBB2_1184
; %bb.957:
	v_ashrrev_i32_e32 v10, 31, v0
	v_lshrrev_b32_e32 v51, 5, v1
	v_and_b32_e32 v12, 31, v31
	s_lshr_b32 s4, s16, 27
	v_cmp_eq_u32_e32 vcc_lo, 32, v1
	v_lshrrev_b32_e32 v10, 27, v10
	v_dual_mov_b32 v82, 1 :: v_dual_lshlrev_b32 v53, 9, v51
	v_lshl_add_u32 v14, v51, 8, 0xffffff00
	v_lshlrev_b32_e32 v67, 6, v51
	s_delay_alu instid0(VALU_DEP_4) | instskip(NEXT) | instid1(VALU_DEP_4)
	v_dual_mov_b32 v11, 0 :: v_dual_add_nc_u32 v10, v0, v10
	v_add_nc_u32_e32 v16, 0xfffffe00, v53
	s_add_i32 s16, s16, s4
	v_ashrrev_i32_e32 v50, 31, v65
	s_delay_alu instid0(VALU_DEP_3)
	v_and_b32_e32 v13, 0xffffffe0, v10
	v_ashrrev_i32_e32 v52, 5, v10
	v_lshl_add_u32 v10, v51, 10, 0xfffffc00
	v_add_co_u32 v68, s7, 0x200, v16
	v_cmp_ne_u32_e64 s2, 32, v1
	v_cmp_ne_u32_e64 s3, v64, v1
	s_delay_alu instid0(VALU_DEP_4) | instskip(SKIP_3) | instid1(VALU_DEP_4)
	v_ashrrev_i32_e32 v15, 31, v10
	v_add_co_u32 v55, s5, 0x400, v10
	v_ashrrev_i32_e32 v10, 31, v16
	v_subrev_nc_u32_e32 v16, 64, v67
	v_add_co_ci_u32_e64 v66, s5, 0, v15, s5
	s_ashr_i32 s16, s16, 5
	s_delay_alu instid0(VALU_DEP_3)
	v_add_co_ci_u32_e64 v69, s7, 0, v10, s7
	v_ashrrev_i32_e32 v10, 31, v14
	v_add_co_u32 v70, s7, 0x100, v14
	v_mov_b32_e32 v14, 0
	v_mov_b32_e32 v15, 0
	v_sub_nc_u32_e32 v54, v0, v13
	v_lshlrev_b32_e32 v13, 10, v52
	v_add_co_ci_u32_e64 v71, s7, 0, v10, s7
	v_ashrrev_i32_e32 v10, 31, v16
	v_dual_mov_b32 v27, v15 :: v_dual_mov_b32 v26, v14
	v_cmp_eq_u32_e64 s4, 0, v12
	v_lshl_add_u32 v12, v54, 4, v13
	v_add_co_u32 v80, s7, v16, 64
	s_delay_alu instid0(VALU_DEP_1)
	v_add_co_ci_u32_e64 v81, s7, 0, v10, s7
	v_cmp_ne_u64_e64 s7, 0, v[32:33]
	v_lshlrev_b64 v[16:17], 1, v[34:35]
	v_cmp_gt_i32_e64 s5, 1, v54
	v_cmp_lt_i32_e64 s6, v54, v37
	v_ashrrev_i32_e32 v13, 31, v12
	s_mov_b32 s14, 0
	s_xor_b32 s17, vcc_lo, -1
.LBB2_958:                              ; =>This Loop Header: Depth=1
                                        ;     Child Loop BB2_968 Depth 2
                                        ;     Child Loop BB2_995 Depth 2
	;; [unrolled: 1-line block ×10, first 2 shown]
	v_sub_co_u32 v34, vcc_lo, v4, v14
	v_sub_co_ci_u32_e32 v35, vcc_lo, v5, v15, vcc_lo
	s_delay_alu instid0(VALU_DEP_1) | instskip(SKIP_2) | instid1(VALU_DEP_2)
	v_cmp_lt_u64_e32 vcc_lo, v[28:29], v[34:35]
	v_cndmask_b32_e32 v34, v34, v28, vcc_lo
	v_cndmask_b32_e64 v35, v35, 0, vcc_lo
	v_add_nc_u32_e32 v10, 15, v34
	s_delay_alu instid0(VALU_DEP_2) | instskip(NEXT) | instid1(VALU_DEP_2)
	v_cmp_eq_u64_e32 vcc_lo, 0, v[34:35]
	v_and_b32_e32 v10, 0x3ffffff0, v10
	s_or_b32 s18, s1, vcc_lo
	s_delay_alu instid0(SALU_CYCLE_1) | instskip(NEXT) | instid1(VALU_DEP_1)
	s_xor_b32 s10, s18, -1
	v_max_i32_e32 v39, s16, v10
	v_mov_b32_e32 v10, 0
	s_and_saveexec_b32 s19, s10
	s_cbranch_execz .LBB2_1095
; %bb.959:                              ;   in Loop: Header=BB2_958 Depth=1
	s_and_saveexec_b32 s10, s0
	s_cbranch_execz .LBB2_962
; %bb.960:                              ;   in Loop: Header=BB2_958 Depth=1
	s_cbranch_execnz .LBB2_1225
; %bb.961:                              ;   in Loop: Header=BB2_958 Depth=1
	ds_load_b64 v[35:36], v0
	v_lshlrev_b64 v[37:38], 1, v[14:15]
	s_waitcnt lgkmcnt(0)
	v_add_co_u32 v10, vcc_lo, v35, v16
	v_add_co_ci_u32_e32 v36, vcc_lo, v36, v17, vcc_lo
	s_delay_alu instid0(VALU_DEP_2) | instskip(NEXT) | instid1(VALU_DEP_2)
	v_add_co_u32 v35, vcc_lo, v10, v37
	v_add_co_ci_u32_e32 v36, vcc_lo, v36, v38, vcc_lo
	v_mov_b32_e32 v10, v11
	ds_store_b64 v0, v[35:36]
	ds_store_b64 v0, v[10:11]
.LBB2_962:                              ;   in Loop: Header=BB2_958 Depth=1
	s_or_b32 exec_lo, exec_lo, s10
	v_and_b32_e32 v10, 8, v30
	s_mov_b32 s11, -1
	s_mov_b32 s10, exec_lo
	s_delay_alu instid0(VALU_DEP_1)
	v_cmpx_ne_u32_e32 0, v10
	s_cbranch_execz .LBB2_976
; %bb.963:                              ;   in Loop: Header=BB2_958 Depth=1
	v_add_co_u32 v37, vcc_lo, v24, 8
	v_add_co_ci_u32_e32 v38, vcc_lo, 0, v25, vcc_lo
	v_add_co_u32 v35, vcc_lo, v8, 1
	v_add_co_ci_u32_e32 v36, vcc_lo, 0, v9, vcc_lo
	v_mov_b32_e32 v10, 1
	s_mov_b32 s11, exec_lo
	s_delay_alu instid0(VALU_DEP_2)
	v_cmpx_lt_u64_e64 v[37:38], v[35:36]
	s_cbranch_execz .LBB2_975
; %bb.964:                              ;   in Loop: Header=BB2_958 Depth=1
	v_mov_b32_e32 v10, 0
	s_mov_b32 s20, 0
                                        ; implicit-def: $sgpr21
	s_branch .LBB2_968
.LBB2_965:                              ;   in Loop: Header=BB2_968 Depth=2
	s_or_b32 exec_lo, exec_lo, s25
	v_mov_b32_e32 v37, 0
	s_or_not1_b32 s24, s24, exec_lo
.LBB2_966:                              ;   in Loop: Header=BB2_968 Depth=2
	s_or_b32 exec_lo, exec_lo, s23
	s_delay_alu instid0(VALU_DEP_1) | instskip(SKIP_2) | instid1(SALU_CYCLE_1)
	v_mov_b32_e32 v10, v37
	s_and_not1_b32 s21, s21, exec_lo
	s_and_b32 s23, s24, exec_lo
	s_or_b32 s21, s21, s23
.LBB2_967:                              ;   in Loop: Header=BB2_968 Depth=2
	s_or_b32 exec_lo, exec_lo, s22
	s_waitcnt vmcnt(0) lgkmcnt(0)
	v_add_co_u32 v37, vcc_lo, v24, 8
	v_add_co_ci_u32_e32 v38, vcc_lo, 0, v25, vcc_lo
	s_xor_b32 s22, s21, -1
	s_delay_alu instid0(VALU_DEP_1) | instskip(SKIP_1) | instid1(SALU_CYCLE_1)
	v_cmp_ge_u64_e32 vcc_lo, v[37:38], v[35:36]
	s_or_b32 s22, s22, vcc_lo
	s_and_b32 s22, exec_lo, s22
	s_delay_alu instid0(SALU_CYCLE_1) | instskip(NEXT) | instid1(SALU_CYCLE_1)
	s_or_b32 s20, s22, s20
	s_and_not1_b32 exec_lo, exec_lo, s20
	s_cbranch_execz .LBB2_974
.LBB2_968:                              ;   Parent Loop BB2_958 Depth=1
                                        ; =>  This Inner Loop Header: Depth=2
	s_sleep 1
	flat_load_b64 v[24:25], v[20:21] glc
	v_and_b32_e32 v37, 64, v30
	s_and_not1_b32 s21, s21, exec_lo
	s_mov_b32 s22, exec_lo
	s_delay_alu instid0(VALU_DEP_1)
	v_cmpx_eq_u32_e32 0, v37
	s_cbranch_execz .LBB2_967
; %bb.969:                              ;   in Loop: Header=BB2_968 Depth=2
	v_add_nc_u32_e32 v37, 1, v10
	s_mov_b32 s24, -1
	s_mov_b32 s23, exec_lo
	v_cmpx_lt_i32_e32 0x270e, v10
	s_cbranch_execz .LBB2_966
; %bb.970:                              ;   in Loop: Header=BB2_968 Depth=2
	s_cbranch_execnz .LBB2_1231
; %bb.971:                              ;   in Loop: Header=BB2_968 Depth=2
	ds_load_b64 v[37:38], v0
	s_mov_b32 s25, exec_lo
	s_waitcnt vmcnt(0) lgkmcnt(0)
	s_waitcnt_vscnt null, 0x0
	flat_load_b32 v10, v[37:38] glc
	s_waitcnt vmcnt(0) lgkmcnt(0)
	buffer_gl1_inv
	buffer_gl0_inv
	v_cmpx_ne_u32_e32 0, v10
	s_cbranch_execz .LBB2_965
; %bb.972:                              ;   in Loop: Header=BB2_968 Depth=2
	ds_store_b32 v0, v10
	s_cbranch_execnz .LBB2_1274
; %bb.973:                              ;   in Loop: Header=BB2_968 Depth=2
	v_or_b32_e32 v30, 64, v30
	s_xor_b32 s24, exec_lo, -1
	s_branch .LBB2_965
.LBB2_974:                              ;   in Loop: Header=BB2_958 Depth=1
	s_or_b32 exec_lo, exec_lo, s20
	v_and_b32_e32 v10, 8, v30
.LBB2_975:                              ;   in Loop: Header=BB2_958 Depth=1
	s_or_b32 exec_lo, exec_lo, s11
	s_delay_alu instid0(VALU_DEP_1)
	v_cmp_eq_u32_e32 vcc_lo, 0, v10
	;;#ASMSTART
	s_wakeup
	;;#ASMEND
	s_or_not1_b32 s11, vcc_lo, exec_lo
.LBB2_976:                              ;   in Loop: Header=BB2_958 Depth=1
	s_or_b32 exec_lo, exec_lo, s10
	v_min_u32_e32 v39, v39, v34
	s_xor_b32 s10, s11, -1
	s_delay_alu instid0(SALU_CYCLE_1)
	s_and_saveexec_b32 s11, s10
	s_cbranch_execz .LBB2_986
; %bb.977:                              ;   in Loop: Header=BB2_958 Depth=1
	v_and_b32_e32 v10, 0x100, v30
	v_and_b32_e32 v48, 7, v8
	s_mov_b32 s10, -1
	s_mov_b32 s20, exec_lo
                                        ; implicit-def: $vgpr35_vgpr36
	s_delay_alu instid0(VALU_DEP_2)
	v_cmpx_ne_u32_e32 0, v10
	s_cbranch_execz .LBB2_981
; %bb.978:                              ;   in Loop: Header=BB2_958 Depth=1
	v_mad_u64_u32 v[37:38], null, v48, 24, v[6:7]
	v_lshlrev_b32_e32 v10, 1, v39
	flat_load_b32 v35, v[37:38]
	flat_store_b64 v[37:38], v[10:11] offset:8
	s_waitcnt vmcnt(0) lgkmcnt(1)
	v_cmp_ne_u32_e32 vcc_lo, 1, v35
	v_cmp_eq_u32_e64 s10, 1, v35
                                        ; implicit-def: $vgpr35_vgpr36
	s_delay_alu instid0(VALU_DEP_1)
	s_and_saveexec_b32 s21, s10
	s_cbranch_execz .LBB2_980
; %bb.979:                              ;   in Loop: Header=BB2_958 Depth=1
	flat_load_b32 v35, v[37:38] offset:4 glc
	s_waitcnt vmcnt(0) lgkmcnt(0)
	v_ashrrev_i32_e32 v36, 31, v35
	s_delay_alu instid0(VALU_DEP_1)
	v_lshrrev_b64 v[35:36], 1, v[35:36]
.LBB2_980:                              ;   in Loop: Header=BB2_958 Depth=1
	s_or_b32 exec_lo, exec_lo, s21
	s_delay_alu instid0(SALU_CYCLE_1)
	s_or_not1_b32 s10, vcc_lo, exec_lo
.LBB2_981:                              ;   in Loop: Header=BB2_958 Depth=1
	s_or_b32 exec_lo, exec_lo, s20
	s_and_saveexec_b32 s20, s10
; %bb.982:                              ;   in Loop: Header=BB2_958 Depth=1
	v_mad_i64_i32 v[35:36], null, v48, v65, 0
; %bb.983:                              ;   in Loop: Header=BB2_958 Depth=1
	s_or_b32 exec_lo, exec_lo, s20
	s_delay_alu instid0(VALU_DEP_1) | instskip(SKIP_2) | instid1(VALU_DEP_2)
	v_lshlrev_b64 v[35:36], 1, v[35:36]
	v_and_b32_e32 v10, 0x2000, v30
	s_mov_b32 s10, exec_lo
	v_add_co_u32 v35, vcc_lo, v22, v35
	s_delay_alu instid0(VALU_DEP_3)
	v_add_co_ci_u32_e32 v36, vcc_lo, v23, v36, vcc_lo
	ds_store_b64 v0, v[35:36] offset:784
	v_cmpx_ne_u32_e32 0, v10
	s_cbranch_execz .LBB2_985
; %bb.984:                              ;   in Loop: Header=BB2_958 Depth=1
	ds_load_b64 v[35:36], v0 offset:584
	s_waitcnt lgkmcnt(0)
	v_add_co_u32 v35, vcc_lo, v35, 1
	v_add_co_ci_u32_e32 v36, vcc_lo, 0, v36, vcc_lo
	ds_store_b64 v0, v[35:36] offset:584
.LBB2_985:                              ;   in Loop: Header=BB2_958 Depth=1
	s_or_b32 exec_lo, exec_lo, s10
	v_add_co_u32 v8, vcc_lo, v8, 1
	v_add_co_ci_u32_e32 v9, vcc_lo, 0, v9, vcc_lo
.LBB2_986:                              ;   in Loop: Header=BB2_958 Depth=1
	s_or_b32 exec_lo, exec_lo, s11
	s_and_saveexec_b32 s10, s2
	s_cbranch_execz .LBB2_1008
; %bb.987:                              ;   in Loop: Header=BB2_958 Depth=1
	s_and_saveexec_b32 s11, s3
	s_delay_alu instid0(SALU_CYCLE_1)
	s_xor_b32 s11, exec_lo, s11
	s_cbranch_execz .LBB2_1005
; %bb.988:                              ;   in Loop: Header=BB2_958 Depth=1
	s_and_saveexec_b32 s20, s4
	s_cbranch_execz .LBB2_1004
; %bb.989:                              ;   in Loop: Header=BB2_958 Depth=1
	s_mov_b32 s22, exec_lo
	s_mov_b32 s21, exec_lo
	v_mbcnt_lo_u32_b32 v10, s22, 0
	s_waitcnt lgkmcnt(0)
	s_waitcnt_vscnt null, 0x0
	buffer_gl1_inv
	buffer_gl0_inv
	v_cmpx_eq_u32_e32 0, v10
	s_cbranch_execz .LBB2_991
; %bb.990:                              ;   in Loop: Header=BB2_958 Depth=1
	s_bcnt1_i32_b32 s22, s22
	s_delay_alu instid0(SALU_CYCLE_1)
	v_mov_b32_e32 v10, s22
	ds_add_u64 v0, v[10:11]
	s_cbranch_execnz .LBB2_1286
.LBB2_991:                              ;   in Loop: Header=BB2_958 Depth=1
	s_or_b32 exec_lo, exec_lo, s21
	s_cbranch_execnz .LBB2_1276
; %bb.992:                              ;   in Loop: Header=BB2_958 Depth=1
	ds_load_b64 v[35:36], v0
	v_add_co_u32 v26, vcc_lo, v26, v51
	v_add_co_ci_u32_e32 v27, vcc_lo, 0, v27, vcc_lo
	s_mov_b32 s21, exec_lo
	s_waitcnt lgkmcnt(0)
	s_delay_alu instid0(VALU_DEP_1)
	v_cmpx_lt_u64_e64 v[35:36], v[26:27]
	s_cbranch_execz .LBB2_1003
; %bb.993:                              ;   in Loop: Header=BB2_958 Depth=1
	s_mov_b32 s22, 0
	s_mov_b32 s25, 0
                                        ; implicit-def: $sgpr23
                                        ; implicit-def: $sgpr24
	s_branch .LBB2_995
.LBB2_994:                              ;   in Loop: Header=BB2_995 Depth=2
	s_or_b32 exec_lo, exec_lo, s28
	s_delay_alu instid0(SALU_CYCLE_1) | instskip(NEXT) | instid1(SALU_CYCLE_1)
	s_and_b32 s26, exec_lo, s27
	s_or_b32 s22, s26, s22
	s_and_not1_b32 s23, s23, exec_lo
	s_and_b32 s26, s24, exec_lo
	s_delay_alu instid0(SALU_CYCLE_1)
	s_or_b32 s23, s23, s26
	s_and_not1_b32 exec_lo, exec_lo, s22
	s_cbranch_execz .LBB2_1001
.LBB2_995:                              ;   Parent Loop BB2_958 Depth=1
                                        ; =>  This Inner Loop Header: Depth=2
	s_add_i32 s25, s25, 1
                                        ; implicit-def: $sgpr27
	s_delay_alu instid0(SALU_CYCLE_1) | instskip(SKIP_1) | instid1(SALU_CYCLE_1)
	s_cmpk_lg_i32 s25, 0x2710
	s_cselect_b32 s26, -1, 0
	s_and_b32 vcc_lo, exec_lo, s26
	s_cbranch_vccz .LBB2_999
.LBB2_996:                              ;   in Loop: Header=BB2_995 Depth=2
	s_and_not1_b32 s24, s24, exec_lo
	s_and_b32 s28, s27, exec_lo
	s_mov_b32 s27, -1
	s_or_b32 s24, s24, s28
	s_and_saveexec_b32 s28, s26
	s_cbranch_execz .LBB2_994
; %bb.997:                              ;   in Loop: Header=BB2_995 Depth=2
	s_sleep 1
	s_cbranch_execnz .LBB2_1318
; %bb.998:                              ;   in Loop: Header=BB2_995 Depth=2
	ds_load_b64 v[35:36], v0
	s_and_not1_b32 s24, s24, exec_lo
	s_waitcnt lgkmcnt(0)
	v_cmp_ge_u64_e32 vcc_lo, v[35:36], v[26:27]
	s_or_not1_b32 s27, vcc_lo, exec_lo
	s_branch .LBB2_994
.LBB2_999:                              ;   in Loop: Header=BB2_995 Depth=2
	s_cbranch_execnz .LBB2_1328
; %bb.1000:                             ;   in Loop: Header=BB2_995 Depth=2
	ds_load_b64 v[35:36], v0
	s_and_not1_b32 s26, s26, exec_lo
	s_mov_b32 s25, 0
	s_mov_b32 s27, -1
	s_waitcnt lgkmcnt(0)
	flat_load_b32 v10, v[35:36] glc
	s_waitcnt vmcnt(0) lgkmcnt(0)
	buffer_gl1_inv
	buffer_gl0_inv
	v_cmp_eq_u32_e32 vcc_lo, 0, v10
	s_and_b32 s28, vcc_lo, exec_lo
	s_delay_alu instid0(SALU_CYCLE_1)
	s_or_b32 s26, s26, s28
	s_branch .LBB2_996
.LBB2_1001:                             ;   in Loop: Header=BB2_958 Depth=1
	s_or_b32 exec_lo, exec_lo, s22
	s_and_saveexec_b32 s22, s23
	s_delay_alu instid0(SALU_CYCLE_1)
	s_xor_b32 s22, exec_lo, s22
	s_cbranch_execz .LBB2_1003
; %bb.1002:                             ;   in Loop: Header=BB2_958 Depth=1
	ds_store_b32 v0, v82
	s_cbranch_execnz .LBB2_1426
.LBB2_1003:                             ;   in Loop: Header=BB2_958 Depth=1
	s_or_b32 exec_lo, exec_lo, s21
	;;#ASMSTART
	s_wakeup
	;;#ASMEND
.LBB2_1004:                             ;   in Loop: Header=BB2_958 Depth=1
	s_or_b32 exec_lo, exec_lo, s20
.LBB2_1005:                             ;   in Loop: Header=BB2_958 Depth=1
	s_and_not1_saveexec_b32 s11, s11
	s_cbranch_execz .LBB2_1007
; %bb.1006:                             ;   in Loop: Header=BB2_958 Depth=1
	s_waitcnt lgkmcnt(0)
	s_waitcnt_vscnt null, 0x0
	buffer_gl1_inv
	buffer_gl0_inv
	s_barrier
.LBB2_1007:                             ;   in Loop: Header=BB2_958 Depth=1
	s_or_b32 exec_lo, exec_lo, s11
.LBB2_1008:                             ;   in Loop: Header=BB2_958 Depth=1
	s_delay_alu instid0(SALU_CYCLE_1)
	s_or_b32 exec_lo, exec_lo, s10
	s_cbranch_execnz .LBB2_1223
; %bb.1009:                             ;   in Loop: Header=BB2_958 Depth=1
	ds_load_b32 v35, v0
	v_and_b32_e32 v10, 0x4000, v30
	s_delay_alu instid0(VALU_DEP_1) | instskip(SKIP_1) | instid1(SALU_CYCLE_1)
	v_cmp_ne_u32_e32 vcc_lo, 0, v10
	s_and_b32 s11, s17, vcc_lo
	s_and_saveexec_b32 s10, s11
	s_cbranch_execz .LBB2_1031
; %bb.1010:                             ;   in Loop: Header=BB2_958 Depth=1
	s_and_saveexec_b32 s11, s3
	s_delay_alu instid0(SALU_CYCLE_1)
	s_xor_b32 s11, exec_lo, s11
	s_cbranch_execz .LBB2_1028
; %bb.1011:                             ;   in Loop: Header=BB2_958 Depth=1
	s_and_saveexec_b32 s20, s4
	s_cbranch_execz .LBB2_1027
; %bb.1012:                             ;   in Loop: Header=BB2_958 Depth=1
	s_mov_b32 s22, exec_lo
	s_mov_b32 s21, exec_lo
	v_mbcnt_lo_u32_b32 v10, s22, 0
	s_waitcnt lgkmcnt(0)
	s_waitcnt_vscnt null, 0x0
	buffer_gl1_inv
	buffer_gl0_inv
	v_cmpx_eq_u32_e32 0, v10
	s_cbranch_execz .LBB2_1014
; %bb.1013:                             ;   in Loop: Header=BB2_958 Depth=1
	s_bcnt1_i32_b32 s22, s22
	s_delay_alu instid0(SALU_CYCLE_1)
	v_mov_b32_e32 v10, s22
	ds_add_u64 v0, v[10:11]
	s_cbranch_execnz .LBB2_1316
.LBB2_1014:                             ;   in Loop: Header=BB2_958 Depth=1
	s_or_b32 exec_lo, exec_lo, s21
	s_cbranch_execnz .LBB2_1304
; %bb.1015:                             ;   in Loop: Header=BB2_958 Depth=1
	ds_load_b64 v[36:37], v0
	v_add_co_u32 v26, vcc_lo, v26, v51
	v_add_co_ci_u32_e32 v27, vcc_lo, 0, v27, vcc_lo
	s_mov_b32 s21, exec_lo
	s_waitcnt lgkmcnt(0)
	s_delay_alu instid0(VALU_DEP_1)
	v_cmpx_lt_u64_e64 v[36:37], v[26:27]
	s_cbranch_execz .LBB2_1026
; %bb.1016:                             ;   in Loop: Header=BB2_958 Depth=1
	s_mov_b32 s22, 0
	s_mov_b32 s25, 0
                                        ; implicit-def: $sgpr23
                                        ; implicit-def: $sgpr24
	s_branch .LBB2_1018
.LBB2_1017:                             ;   in Loop: Header=BB2_1018 Depth=2
	s_or_b32 exec_lo, exec_lo, s28
	s_delay_alu instid0(SALU_CYCLE_1) | instskip(NEXT) | instid1(SALU_CYCLE_1)
	s_and_b32 s26, exec_lo, s27
	s_or_b32 s22, s26, s22
	s_and_not1_b32 s23, s23, exec_lo
	s_and_b32 s26, s24, exec_lo
	s_delay_alu instid0(SALU_CYCLE_1)
	s_or_b32 s23, s23, s26
	s_and_not1_b32 exec_lo, exec_lo, s22
	s_cbranch_execz .LBB2_1024
.LBB2_1018:                             ;   Parent Loop BB2_958 Depth=1
                                        ; =>  This Inner Loop Header: Depth=2
	s_add_i32 s25, s25, 1
                                        ; implicit-def: $sgpr27
	s_delay_alu instid0(SALU_CYCLE_1) | instskip(SKIP_1) | instid1(SALU_CYCLE_1)
	s_cmpk_lg_i32 s25, 0x2710
	s_cselect_b32 s26, -1, 0
	s_and_b32 vcc_lo, exec_lo, s26
	s_cbranch_vccz .LBB2_1022
.LBB2_1019:                             ;   in Loop: Header=BB2_1018 Depth=2
	s_and_not1_b32 s24, s24, exec_lo
	s_and_b32 s28, s27, exec_lo
	s_mov_b32 s27, -1
	s_or_b32 s24, s24, s28
	s_and_saveexec_b32 s28, s26
	s_cbranch_execz .LBB2_1017
; %bb.1020:                             ;   in Loop: Header=BB2_1018 Depth=2
	s_sleep 1
	s_cbranch_execnz .LBB2_1348
; %bb.1021:                             ;   in Loop: Header=BB2_1018 Depth=2
	ds_load_b64 v[36:37], v0
	s_and_not1_b32 s24, s24, exec_lo
	s_waitcnt lgkmcnt(0)
	v_cmp_ge_u64_e32 vcc_lo, v[36:37], v[26:27]
	s_or_not1_b32 s27, vcc_lo, exec_lo
	s_branch .LBB2_1017
.LBB2_1022:                             ;   in Loop: Header=BB2_1018 Depth=2
	s_cbranch_execnz .LBB2_1356
; %bb.1023:                             ;   in Loop: Header=BB2_1018 Depth=2
	ds_load_b64 v[36:37], v0
	s_and_not1_b32 s26, s26, exec_lo
	s_mov_b32 s25, 0
	s_mov_b32 s27, -1
	s_waitcnt lgkmcnt(0)
	flat_load_b32 v10, v[36:37] glc
	s_waitcnt vmcnt(0) lgkmcnt(0)
	buffer_gl1_inv
	buffer_gl0_inv
	v_cmp_eq_u32_e32 vcc_lo, 0, v10
	s_and_b32 s28, vcc_lo, exec_lo
	s_delay_alu instid0(SALU_CYCLE_1)
	s_or_b32 s26, s26, s28
	s_branch .LBB2_1019
.LBB2_1024:                             ;   in Loop: Header=BB2_958 Depth=1
	s_or_b32 exec_lo, exec_lo, s22
	s_and_saveexec_b32 s22, s23
	s_delay_alu instid0(SALU_CYCLE_1)
	s_xor_b32 s22, exec_lo, s22
	s_cbranch_execz .LBB2_1026
; %bb.1025:                             ;   in Loop: Header=BB2_958 Depth=1
	ds_store_b32 v0, v82
	s_cbranch_execnz .LBB2_1434
.LBB2_1026:                             ;   in Loop: Header=BB2_958 Depth=1
	s_or_b32 exec_lo, exec_lo, s21
	;;#ASMSTART
	s_wakeup
	;;#ASMEND
.LBB2_1027:                             ;   in Loop: Header=BB2_958 Depth=1
	s_or_b32 exec_lo, exec_lo, s20
.LBB2_1028:                             ;   in Loop: Header=BB2_958 Depth=1
	s_and_not1_saveexec_b32 s11, s11
	s_cbranch_execz .LBB2_1030
; %bb.1029:                             ;   in Loop: Header=BB2_958 Depth=1
	s_waitcnt lgkmcnt(0)
	s_waitcnt_vscnt null, 0x0
	buffer_gl1_inv
	buffer_gl0_inv
	s_barrier
.LBB2_1030:                             ;   in Loop: Header=BB2_958 Depth=1
	s_or_b32 exec_lo, exec_lo, s11
.LBB2_1031:                             ;   in Loop: Header=BB2_958 Depth=1
	s_delay_alu instid0(SALU_CYCLE_1)
	s_or_b32 exec_lo, exec_lo, s10
	s_cbranch_execnz .LBB2_1237
; %bb.1032:                             ;   in Loop: Header=BB2_958 Depth=1
	ds_load_b64 v[36:37], v0
	s_waitcnt lgkmcnt(0)
	v_cmp_eq_u64_e32 vcc_lo, 0, v[36:37]
	s_or_b32 s10, vcc_lo, vcc_lo
	s_delay_alu instid0(SALU_CYCLE_1)
	s_and_b32 vcc_lo, exec_lo, s10
	s_mov_b32 s10, 0
	s_cbranch_vccnz .LBB2_1066
; %bb.1033:                             ;   in Loop: Header=BB2_958 Depth=1
	s_mov_b32 s10, -1
	s_and_saveexec_b32 s11, s5
	s_cbranch_execz .LBB2_1035
; %bb.1034:                             ;   in Loop: Header=BB2_958 Depth=1
	ds_load_b32 v10, v0 offset:720
	s_waitcnt lgkmcnt(0)
	v_and_b32_e32 v10, 15, v10
	s_delay_alu instid0(VALU_DEP_1)
	v_cmp_eq_u32_e32 vcc_lo, 0, v10
	s_or_not1_b32 s10, vcc_lo, exec_lo
.LBB2_1035:                             ;   in Loop: Header=BB2_958 Depth=1
	s_or_b32 exec_lo, exec_lo, s11
	s_and_saveexec_b32 s11, s6
	s_cbranch_execz .LBB2_1037
; %bb.1036:                             ;   in Loop: Header=BB2_958 Depth=1
	ds_load_b32 v10, v0 offset:784
	s_waitcnt lgkmcnt(0)
	v_and_b32_e32 v10, 15, v10
	s_delay_alu instid0(VALU_DEP_1) | instskip(SKIP_3) | instid1(SALU_CYCLE_1)
	v_cmp_eq_u32_e32 vcc_lo, 0, v10
	s_and_b32 s20, s10, vcc_lo
	s_and_not1_b32 s10, s10, exec_lo
	s_and_b32 s20, s20, exec_lo
	s_or_b32 s10, s10, s20
.LBB2_1037:                             ;   in Loop: Header=BB2_958 Depth=1
	s_or_b32 exec_lo, exec_lo, s11
	v_cmp_eq_u32_e32 vcc_lo, 0, v35
	s_xor_b32 s10, s10, -1
	v_mov_b32_e32 v49, 0
	v_cndmask_b32_e64 v36, 0, 1, s10
	;;#ASMSTART
	;;#ASMEND
	v_cndmask_b32_e32 v10, 0, v39, vcc_lo
	s_delay_alu instid0(VALU_DEP_2) | instskip(SKIP_1) | instid1(VALU_DEP_2)
	v_cmp_ne_u32_e32 vcc_lo, 0, v36
	s_mov_b32 s10, -1
	v_lshlrev_b32_e32 v48, 1, v10
	s_cbranch_vccz .LBB2_1039
; %bb.1038:                             ;   in Loop: Header=BB2_958 Depth=1
	v_mov_b32_e32 v83, v0
	v_mov_b32_e32 v87, v52
	s_branch .LBB2_1054
.LBB2_1039:                             ;   in Loop: Header=BB2_958 Depth=1
	v_lshrrev_b32_e32 v49, 9, v10
	s_mov_b32 s11, exec_lo
	s_delay_alu instid0(VALU_DEP_1) | instskip(NEXT) | instid1(VALU_DEP_1)
	v_sub_nc_u32_e32 v84, v49, v52
	v_cmpx_lt_i32_e32 0, v84
	s_cbranch_execz .LBB2_1044
; %bb.1040:                             ;   in Loop: Header=BB2_958 Depth=1
	s_cbranch_execnz .LBB2_1332
; %bb.1041:                             ;   in Loop: Header=BB2_958 Depth=1
	ds_load_b64 v[35:36], v0
	v_dual_mov_b32 v38, v13 :: v_dual_mov_b32 v37, v12
	s_mov_b32 s20, 0
.LBB2_1042:                             ;   Parent Loop BB2_958 Depth=1
                                        ; =>  This Inner Loop Header: Depth=2
	s_waitcnt lgkmcnt(0)
	s_delay_alu instid0(VALU_DEP_1) | instskip(NEXT) | instid1(VALU_DEP_2)
	v_add_co_u32 v85, vcc_lo, v35, v37
	v_add_co_ci_u32_e32 v86, vcc_lo, v36, v38, vcc_lo
	v_sub_nc_u32_e32 v84, v84, v51
	v_add_co_u32 v37, s10, v37, v55
	s_clause 0x1
	global_load_b128 v[96:99], v[85:86], off slc dlc
	global_load_b128 v[100:103], v[85:86], off offset:512 slc dlc
	v_add_co_ci_u32_e64 v38, s10, v38, v66, s10
	v_cmp_gt_i32_e32 vcc_lo, 1, v84
	s_waitcnt vmcnt(1)
	global_store_b128 v[85:86], v[96:99], off glc slc dlc
	s_waitcnt vmcnt(0)
	global_store_b128 v[85:86], v[100:103], off offset:512 glc slc dlc
	s_or_b32 s20, vcc_lo, s20
	s_delay_alu instid0(SALU_CYCLE_1)
	s_and_not1_b32 exec_lo, exec_lo, s20
	s_cbranch_execnz .LBB2_1042
; %bb.1043:                             ;   in Loop: Header=BB2_958 Depth=1
	s_or_b32 exec_lo, exec_lo, s20
.LBB2_1044:                             ;   in Loop: Header=BB2_958 Depth=1
	s_delay_alu instid0(SALU_CYCLE_1) | instskip(SKIP_4) | instid1(VALU_DEP_2)
	s_or_b32 exec_lo, exec_lo, s11
	v_lshlrev_b32_e32 v37, 10, v49
	v_mov_b32_e32 v49, 0
	s_mov_b32 s10, 0
	s_mov_b32 s20, exec_lo
                                        ; implicit-def: $vgpr83
                                        ; implicit-def: $vgpr87
	v_cmpx_ne_u32_e64 v48, v37
	s_cbranch_execz .LBB2_1053
; %bb.1045:                             ;   in Loop: Header=BB2_958 Depth=1
	v_lshlrev_b32_e32 v35, 5, v84
	v_sub_nc_u32_e32 v49, v48, v37
	s_mov_b32 s21, exec_lo
	s_delay_alu instid0(VALU_DEP_2) | instskip(NEXT) | instid1(VALU_DEP_2)
	v_sub_nc_u32_e32 v35, v54, v35
	v_ashrrev_i32_e32 v38, 31, v49
	s_delay_alu instid0(VALU_DEP_2) | instskip(NEXT) | instid1(VALU_DEP_2)
	v_ashrrev_i32_e32 v36, 31, v35
	v_lshrrev_b32_e32 v38, 23, v38
	s_delay_alu instid0(VALU_DEP_2) | instskip(NEXT) | instid1(VALU_DEP_2)
	v_lshrrev_b32_e32 v36, 27, v36
	v_add_nc_u32_e32 v86, v49, v38
	s_delay_alu instid0(VALU_DEP_2) | instskip(NEXT) | instid1(VALU_DEP_2)
	v_add_nc_u32_e32 v36, v35, v36
	v_and_b32_e32 v38, 0xfffffe00, v86
	v_ashrrev_i32_e32 v86, 9, v86
	s_delay_alu instid0(VALU_DEP_3) | instskip(NEXT) | instid1(VALU_DEP_3)
	v_and_b32_e32 v83, 0xffffffe0, v36
	v_sub_nc_u32_e32 v85, v49, v38
	s_delay_alu instid0(VALU_DEP_2) | instskip(SKIP_1) | instid1(VALU_DEP_3)
	v_sub_nc_u32_e32 v84, v35, v83
	v_ashrrev_i32_e32 v35, 5, v36
	v_cmp_lt_i32_e32 vcc_lo, 15, v85
	s_delay_alu instid0(VALU_DEP_3) | instskip(NEXT) | instid1(VALU_DEP_1)
	v_lshlrev_b32_e32 v36, 4, v84
	v_lshl_add_u32 v83, v35, 9, v36
	v_add_co_ci_u32_e64 v36, s10, 0, v86, vcc_lo
	s_delay_alu instid0(VALU_DEP_2) | instskip(NEXT) | instid1(VALU_DEP_2)
	v_sub_nc_u32_e32 v49, v49, v83
	v_sub_nc_u32_e32 v86, v36, v35
	s_delay_alu instid0(VALU_DEP_2)
	v_cmpx_lt_i32_e32 15, v49
	s_cbranch_execz .LBB2_1050
; %bb.1046:                             ;   in Loop: Header=BB2_958 Depth=1
	s_cbranch_execnz .LBB2_1374
; %bb.1047:                             ;   in Loop: Header=BB2_958 Depth=1
	ds_load_b64 v[35:36], v0
	v_add_nc_u32_e32 v83, v83, v37
	s_mov_b32 s22, 0
	s_delay_alu instid0(VALU_DEP_1)
	v_ashrrev_i32_e32 v87, 31, v83
.LBB2_1048:                             ;   Parent Loop BB2_958 Depth=1
                                        ; =>  This Inner Loop Header: Depth=2
	s_waitcnt lgkmcnt(0)
	v_add_co_u32 v100, s10, v35, v83
	s_delay_alu instid0(VALU_DEP_1)
	v_add_co_ci_u32_e64 v101, s10, v36, v87, s10
	v_sub_nc_u32_e32 v49, v49, v53
	v_add_co_u32 v83, s11, v83, v68
	global_load_b128 v[96:99], v[100:101], off slc dlc
	v_sub_nc_u32_e32 v86, v86, v51
	v_cmp_gt_i32_e64 s10, 16, v49
	v_add_co_ci_u32_e64 v87, s11, v87, v69, s11
	s_delay_alu instid0(VALU_DEP_2)
	s_or_b32 s22, s10, s22
	s_waitcnt vmcnt(0)
	global_store_b128 v[100:101], v[96:99], off glc slc dlc
	s_and_not1_b32 exec_lo, exec_lo, s22
	s_cbranch_execnz .LBB2_1048
; %bb.1049:                             ;   in Loop: Header=BB2_958 Depth=1
	s_or_b32 exec_lo, exec_lo, s22
.LBB2_1050:                             ;   in Loop: Header=BB2_958 Depth=1
	s_delay_alu instid0(SALU_CYCLE_1) | instskip(SKIP_3) | instid1(VALU_DEP_1)
	s_or_b32 exec_lo, exec_lo, s21
	v_and_b32_e32 v35, 14, v48
	s_mov_b32 s11, 0
	s_mov_b32 s21, exec_lo
                                        ; implicit-def: $vgpr83
                                        ; implicit-def: $vgpr87
	v_dual_mov_b32 v49, 0 :: v_dual_cndmask_b32 v48, v85, v35
	s_delay_alu instid0(VALU_DEP_1)
	v_cmpx_ne_u32_e32 0, v48
; %bb.1051:                             ;   in Loop: Header=BB2_958 Depth=1
	v_cmp_lt_i32_e64 s10, 0, v86
	v_sub_nc_u32_e32 v35, v85, v35
	s_mov_b32 s11, exec_lo
	s_delay_alu instid0(VALU_DEP_2) | instskip(NEXT) | instid1(VALU_DEP_1)
	v_cndmask_b32_e64 v36, 0, v51, s10
	v_sub_nc_u32_e32 v36, v36, v86
	s_delay_alu instid0(VALU_DEP_1) | instskip(NEXT) | instid1(VALU_DEP_1)
	v_lshl_add_u32 v83, v36, 5, v84
	v_ashrrev_i32_e32 v36, 31, v83
	s_delay_alu instid0(VALU_DEP_1) | instskip(NEXT) | instid1(VALU_DEP_1)
	v_lshrrev_b32_e32 v36, 27, v36
	v_dual_cndmask_b32 v35, 0, v35 :: v_dual_add_nc_u32 v36, v83, v36
	s_delay_alu instid0(VALU_DEP_1) | instskip(NEXT) | instid1(VALU_DEP_2)
	v_add3_u32 v49, v38, v37, v35
	v_ashrrev_i32_e32 v87, 5, v36
; %bb.1052:                             ;   in Loop: Header=BB2_958 Depth=1
	s_or_b32 exec_lo, exec_lo, s21
	s_delay_alu instid0(SALU_CYCLE_1)
	s_and_b32 s10, s11, exec_lo
.LBB2_1053:                             ;   in Loop: Header=BB2_958 Depth=1
	s_or_b32 exec_lo, exec_lo, s20
.LBB2_1054:                             ;   in Loop: Header=BB2_958 Depth=1
	s_and_saveexec_b32 s11, s10
	s_cbranch_execz .LBB2_1065
; %bb.1055:                             ;   in Loop: Header=BB2_958 Depth=1
	v_ashrrev_i32_e32 v35, 31, v48
	s_mov_b32 s20, exec_lo
	s_delay_alu instid0(VALU_DEP_1) | instskip(NEXT) | instid1(VALU_DEP_1)
	v_lshrrev_b32_e32 v35, 24, v35
	v_add_nc_u32_e32 v35, v48, v35
	s_delay_alu instid0(VALU_DEP_1) | instskip(NEXT) | instid1(VALU_DEP_1)
	v_ashrrev_i32_e32 v85, 8, v35
	v_sub_nc_u32_e32 v84, v85, v87
	s_delay_alu instid0(VALU_DEP_1)
	v_cmpx_lt_i32_e32 0, v84
	s_cbranch_execz .LBB2_1060
; %bb.1056:                             ;   in Loop: Header=BB2_958 Depth=1
	s_cbranch_execnz .LBB2_1320
; %bb.1057:                             ;   in Loop: Header=BB2_958 Depth=1
	v_ashrrev_i32_e32 v35, 31, v83
	s_mov_b32 s21, 0
	s_delay_alu instid0(VALU_DEP_1) | instskip(NEXT) | instid1(VALU_DEP_1)
	v_lshrrev_b32_e32 v35, 27, v35
	v_add_nc_u32_e32 v35, v83, v35
	s_delay_alu instid0(VALU_DEP_1) | instskip(SKIP_3) | instid1(VALU_DEP_1)
	v_and_b32_e32 v37, 0x7fffffe0, v35
	ds_load_b64 v[35:36], v0
	v_lshlrev_b32_e32 v38, 8, v87
	v_sub_nc_u32_e32 v37, v83, v37
	v_lshlrev_b32_e32 v37, 1, v37
	s_delay_alu instid0(VALU_DEP_1) | instskip(NEXT) | instid1(VALU_DEP_1)
	v_add3_u32 v86, v37, v49, v38
	v_ashrrev_i32_e32 v87, 31, v86
	s_waitcnt lgkmcnt(0)
	v_dual_mov_b32 v38, v36 :: v_dual_mov_b32 v37, v35
	s_set_inst_prefetch_distance 0x1
.LBB2_1058:                             ;   Parent Loop BB2_958 Depth=1
                                        ; =>  This Inner Loop Header: Depth=2
	s_delay_alu instid0(VALU_DEP_1) | instskip(NEXT) | instid1(VALU_DEP_2)
	v_add_co_u32 v96, vcc_lo, v86, v37
	v_add_co_ci_u32_e32 v97, vcc_lo, v87, v38, vcc_lo
	v_sub_nc_u32_e32 v84, v84, v51
	s_clause 0x3
	flat_load_u16 v98, v[96:97] slc dlc
	flat_load_u16 v99, v[96:97] offset:64 slc dlc
	flat_load_u16 v100, v[96:97] offset:128 slc dlc
	;; [unrolled: 1-line block ×3, first 2 shown]
	v_add_co_u32 v96, vcc_lo, v86, v35
	v_add_co_ci_u32_e32 v97, vcc_lo, v87, v36, vcc_lo
	v_add_co_u32 v37, vcc_lo, v37, v70
	v_add_co_ci_u32_e32 v38, vcc_lo, v38, v71, vcc_lo
	v_add_co_u32 v35, vcc_lo, v35, v70
	v_cmp_gt_i32_e64 s10, 1, v84
	v_add_co_ci_u32_e32 v36, vcc_lo, v36, v71, vcc_lo
	s_waitcnt vmcnt(3) lgkmcnt(3)
	flat_store_b16 v[96:97], v98 glc slc dlc
	s_waitcnt vmcnt(2) lgkmcnt(3)
	flat_store_b16 v[96:97], v99 offset:64 glc slc dlc
	s_waitcnt vmcnt(1) lgkmcnt(3)
	flat_store_b16 v[96:97], v100 offset:128 glc slc dlc
	;; [unrolled: 2-line block ×3, first 2 shown]
	s_or_b32 s21, s10, s21
	s_delay_alu instid0(SALU_CYCLE_1)
	s_and_not1_b32 exec_lo, exec_lo, s21
	s_cbranch_execnz .LBB2_1058
; %bb.1059:                             ;   in Loop: Header=BB2_958 Depth=1
	s_set_inst_prefetch_distance 0x2
	s_or_b32 exec_lo, exec_lo, s21
.LBB2_1060:                             ;   in Loop: Header=BB2_958 Depth=1
	s_delay_alu instid0(SALU_CYCLE_1) | instskip(SKIP_1) | instid1(VALU_DEP_1)
	s_or_b32 exec_lo, exec_lo, s20
	v_lshlrev_b32_e32 v35, 8, v85
	v_cmp_ne_u32_e32 vcc_lo, v48, v35
	s_and_b32 exec_lo, exec_lo, vcc_lo
	s_cbranch_execz .LBB2_1065
; %bb.1061:                             ;   in Loop: Header=BB2_958 Depth=1
	v_ashrrev_i32_e32 v36, 31, v83
	v_lshlrev_b32_e32 v37, 5, v84
	s_delay_alu instid0(VALU_DEP_2) | instskip(NEXT) | instid1(VALU_DEP_1)
	v_lshrrev_b32_e32 v36, 27, v36
	v_add_nc_u32_e32 v36, v83, v36
	s_delay_alu instid0(VALU_DEP_1) | instskip(NEXT) | instid1(VALU_DEP_1)
	v_and_b32_e32 v36, 0xffffffe0, v36
	v_sub_nc_u32_e32 v36, v83, v36
	s_delay_alu instid0(VALU_DEP_1) | instskip(NEXT) | instid1(VALU_DEP_1)
	v_sub_nc_u32_e32 v36, v36, v37
	v_ashrrev_i32_e32 v37, 31, v36
	s_delay_alu instid0(VALU_DEP_1) | instskip(NEXT) | instid1(VALU_DEP_1)
	v_lshrrev_b32_e32 v37, 27, v37
	v_add_nc_u32_e32 v37, v36, v37
	s_delay_alu instid0(VALU_DEP_1) | instskip(SKIP_1) | instid1(VALU_DEP_2)
	v_and_b32_e32 v38, 0x7fffffe0, v37
	v_lshlrev_b32_e32 v37, 1, v37
	v_sub_nc_u32_e32 v36, v36, v38
	s_delay_alu instid0(VALU_DEP_2) | instskip(NEXT) | instid1(VALU_DEP_2)
	v_and_b32_e32 v37, 0xffffffc0, v37
	v_lshlrev_b32_e32 v36, 1, v36
	s_delay_alu instid0(VALU_DEP_1) | instskip(NEXT) | instid1(VALU_DEP_1)
	v_add3_u32 v38, v37, v36, v35
	v_sub_nc_u32_e32 v37, v48, v38
	s_delay_alu instid0(VALU_DEP_1)
	v_cmp_lt_i32_e32 vcc_lo, 1, v37
	s_and_b32 exec_lo, exec_lo, vcc_lo
	s_cbranch_execz .LBB2_1065
; %bb.1062:                             ;   in Loop: Header=BB2_958 Depth=1
	s_cbranch_execnz .LBB2_1360
; %bb.1063:                             ;   in Loop: Header=BB2_958 Depth=1
	ds_load_b64 v[35:36], v0
	v_add_nc_u32_e32 v38, v38, v49
	s_mov_b32 s20, 0
	s_delay_alu instid0(VALU_DEP_1)
	v_ashrrev_i32_e32 v48, 31, v38
.LBB2_1064:                             ;   Parent Loop BB2_958 Depth=1
                                        ; =>  This Inner Loop Header: Depth=2
	s_waitcnt lgkmcnt(0)
	v_add_co_u32 v83, vcc_lo, v35, v38
	s_delay_alu instid0(VALU_DEP_2)
	v_add_co_ci_u32_e32 v84, vcc_lo, v36, v48, vcc_lo
	v_sub_nc_u32_e32 v37, v37, v67
	v_add_co_u32 v38, s10, v38, v80
	flat_load_u16 v49, v[83:84] slc dlc
	v_add_co_ci_u32_e64 v48, s10, v48, v81, s10
	v_cmp_gt_i32_e32 vcc_lo, 2, v37
	s_or_b32 s20, vcc_lo, s20
	s_waitcnt vmcnt(0) lgkmcnt(0)
	flat_store_b16 v[83:84], v49 glc slc dlc
	s_and_not1_b32 exec_lo, exec_lo, s20
	s_cbranch_execnz .LBB2_1064
.LBB2_1065:                             ;   in Loop: Header=BB2_958 Depth=1
	s_or_b32 exec_lo, exec_lo, s11
	v_cmp_ne_u32_e64 s10, 0, v10
.LBB2_1066:                             ;   in Loop: Header=BB2_958 Depth=1
	s_and_saveexec_b32 s11, s2
	s_cbranch_execz .LBB2_1088
; %bb.1067:                             ;   in Loop: Header=BB2_958 Depth=1
	s_and_saveexec_b32 s20, s3
	s_delay_alu instid0(SALU_CYCLE_1)
	s_xor_b32 s20, exec_lo, s20
	s_cbranch_execz .LBB2_1085
; %bb.1068:                             ;   in Loop: Header=BB2_958 Depth=1
	s_and_saveexec_b32 s21, s4
	s_cbranch_execz .LBB2_1084
; %bb.1069:                             ;   in Loop: Header=BB2_958 Depth=1
	s_mov_b32 s23, exec_lo
	s_mov_b32 s22, exec_lo
	v_mbcnt_lo_u32_b32 v10, s23, 0
	s_waitcnt lgkmcnt(0)
	s_waitcnt_vscnt null, 0x0
	buffer_gl1_inv
	buffer_gl0_inv
	v_cmpx_eq_u32_e32 0, v10
	s_cbranch_execz .LBB2_1071
; %bb.1070:                             ;   in Loop: Header=BB2_958 Depth=1
	s_bcnt1_i32_b32 s23, s23
	s_delay_alu instid0(SALU_CYCLE_1)
	v_mov_b32_e32 v10, s23
	ds_add_u64 v0, v[10:11]
	s_cbranch_execnz .LBB2_1350
.LBB2_1071:                             ;   in Loop: Header=BB2_958 Depth=1
	s_or_b32 exec_lo, exec_lo, s22
	s_cbranch_execnz .LBB2_1336
; %bb.1072:                             ;   in Loop: Header=BB2_958 Depth=1
	ds_load_b64 v[35:36], v0
	v_add_co_u32 v26, vcc_lo, v26, v51
	v_add_co_ci_u32_e32 v27, vcc_lo, 0, v27, vcc_lo
	s_mov_b32 s22, exec_lo
	s_waitcnt lgkmcnt(0)
	s_delay_alu instid0(VALU_DEP_1)
	v_cmpx_lt_u64_e64 v[35:36], v[26:27]
	s_cbranch_execz .LBB2_1083
; %bb.1073:                             ;   in Loop: Header=BB2_958 Depth=1
	s_mov_b32 s23, 0
	s_mov_b32 s26, 0
                                        ; implicit-def: $sgpr24
                                        ; implicit-def: $sgpr25
	s_branch .LBB2_1075
.LBB2_1074:                             ;   in Loop: Header=BB2_1075 Depth=2
	s_or_b32 exec_lo, exec_lo, s29
	s_delay_alu instid0(SALU_CYCLE_1) | instskip(NEXT) | instid1(SALU_CYCLE_1)
	s_and_b32 s27, exec_lo, s28
	s_or_b32 s23, s27, s23
	s_and_not1_b32 s24, s24, exec_lo
	s_and_b32 s27, s25, exec_lo
	s_delay_alu instid0(SALU_CYCLE_1)
	s_or_b32 s24, s24, s27
	s_and_not1_b32 exec_lo, exec_lo, s23
	s_cbranch_execz .LBB2_1081
.LBB2_1075:                             ;   Parent Loop BB2_958 Depth=1
                                        ; =>  This Inner Loop Header: Depth=2
	s_add_i32 s26, s26, 1
                                        ; implicit-def: $sgpr28
	s_delay_alu instid0(SALU_CYCLE_1) | instskip(SKIP_1) | instid1(SALU_CYCLE_1)
	s_cmpk_lg_i32 s26, 0x2710
	s_cselect_b32 s27, -1, 0
	s_and_b32 vcc_lo, exec_lo, s27
	s_cbranch_vccz .LBB2_1079
.LBB2_1076:                             ;   in Loop: Header=BB2_1075 Depth=2
	s_and_not1_b32 s25, s25, exec_lo
	s_and_b32 s29, s28, exec_lo
	s_mov_b32 s28, -1
	s_or_b32 s25, s25, s29
	s_and_saveexec_b32 s29, s27
	s_cbranch_execz .LBB2_1074
; %bb.1077:                             ;   in Loop: Header=BB2_1075 Depth=2
	s_sleep 1
	s_cbranch_execnz .LBB2_1394
; %bb.1078:                             ;   in Loop: Header=BB2_1075 Depth=2
	ds_load_b64 v[35:36], v0
	s_and_not1_b32 s25, s25, exec_lo
	s_waitcnt lgkmcnt(0)
	v_cmp_ge_u64_e32 vcc_lo, v[35:36], v[26:27]
	s_or_not1_b32 s28, vcc_lo, exec_lo
	s_branch .LBB2_1074
.LBB2_1079:                             ;   in Loop: Header=BB2_1075 Depth=2
	s_cbranch_execnz .LBB2_1406
; %bb.1080:                             ;   in Loop: Header=BB2_1075 Depth=2
	ds_load_b64 v[35:36], v0
	s_and_not1_b32 s27, s27, exec_lo
	s_mov_b32 s26, 0
	s_mov_b32 s28, -1
	s_waitcnt lgkmcnt(0)
	flat_load_b32 v10, v[35:36] glc
	s_waitcnt vmcnt(0) lgkmcnt(0)
	buffer_gl1_inv
	buffer_gl0_inv
	v_cmp_eq_u32_e32 vcc_lo, 0, v10
	s_and_b32 s29, vcc_lo, exec_lo
	s_delay_alu instid0(SALU_CYCLE_1)
	s_or_b32 s27, s27, s29
	s_branch .LBB2_1076
.LBB2_1081:                             ;   in Loop: Header=BB2_958 Depth=1
	s_or_b32 exec_lo, exec_lo, s23
	s_and_saveexec_b32 s23, s24
	s_delay_alu instid0(SALU_CYCLE_1)
	s_xor_b32 s23, exec_lo, s23
	s_cbranch_execz .LBB2_1083
; %bb.1082:                             ;   in Loop: Header=BB2_958 Depth=1
	ds_store_b32 v0, v82
	s_cbranch_execnz .LBB2_1444
.LBB2_1083:                             ;   in Loop: Header=BB2_958 Depth=1
	s_or_b32 exec_lo, exec_lo, s22
	;;#ASMSTART
	s_wakeup
	;;#ASMEND
.LBB2_1084:                             ;   in Loop: Header=BB2_958 Depth=1
	s_or_b32 exec_lo, exec_lo, s21
.LBB2_1085:                             ;   in Loop: Header=BB2_958 Depth=1
	s_and_not1_saveexec_b32 s20, s20
	s_cbranch_execz .LBB2_1087
; %bb.1086:                             ;   in Loop: Header=BB2_958 Depth=1
	s_waitcnt lgkmcnt(0)
	s_waitcnt_vscnt null, 0x0
	buffer_gl1_inv
	buffer_gl0_inv
	s_barrier
.LBB2_1087:                             ;   in Loop: Header=BB2_958 Depth=1
	s_or_b32 exec_lo, exec_lo, s20
.LBB2_1088:                             ;   in Loop: Header=BB2_958 Depth=1
	s_delay_alu instid0(SALU_CYCLE_1) | instskip(SKIP_1) | instid1(VALU_DEP_1)
	s_or_b32 exec_lo, exec_lo, s11
	v_and_b32_e32 v10, 16, v30
	v_cmp_ne_u32_e32 vcc_lo, 0, v10
	s_and_b32 s11, vcc_lo, s10
	s_delay_alu instid0(SALU_CYCLE_1)
	s_and_saveexec_b32 s10, s11
	s_cbranch_execz .LBB2_1090
; %bb.1089:                             ;   in Loop: Header=BB2_958 Depth=1
	s_waitcnt lgkmcnt(0)
	s_waitcnt_vscnt null, 0x0
	buffer_gl1_inv
	buffer_gl0_inv
.LBB2_1090:                             ;   in Loop: Header=BB2_958 Depth=1
	s_or_b32 exec_lo, exec_lo, s10
	s_delay_alu instid0(SALU_CYCLE_1)
	s_mov_b32 s10, exec_lo
	v_cmpx_ne_u32_e32 0, v10
	s_cbranch_execz .LBB2_1094
; %bb.1091:                             ;   in Loop: Header=BB2_958 Depth=1
	s_and_saveexec_b32 s11, s7
	s_cbranch_execz .LBB2_1093
; %bb.1092:                             ;   in Loop: Header=BB2_958 Depth=1
	s_waitcnt lgkmcnt(0)
	s_waitcnt_vscnt null, 0x0
	flat_store_b32 v[32:33], v82
.LBB2_1093:                             ;   in Loop: Header=BB2_958 Depth=1
	s_or_b32 exec_lo, exec_lo, s11
	v_add_co_u32 v8, vcc_lo, v8, 1
	v_add_co_ci_u32_e32 v9, vcc_lo, 0, v9, vcc_lo
	s_waitcnt lgkmcnt(0)
	s_waitcnt_vscnt null, 0x0
	flat_store_b64 v[20:21], v[8:9]
.LBB2_1094:                             ;   in Loop: Header=BB2_958 Depth=1
	s_or_b32 exec_lo, exec_lo, s10
	v_mov_b32_e32 v10, v39
.LBB2_1095:                             ;   in Loop: Header=BB2_958 Depth=1
	s_or_b32 exec_lo, exec_lo, s19
	s_and_saveexec_b32 s11, s18
	s_cbranch_execz .LBB2_1152
; %bb.1096:                             ;   in Loop: Header=BB2_958 Depth=1
	v_and_b32_e32 v35, 8, v30
	s_mov_b32 s18, -1
	s_mov_b32 s10, exec_lo
	s_delay_alu instid0(VALU_DEP_1)
	v_cmpx_ne_u32_e32 0, v35
	s_cbranch_execz .LBB2_1110
; %bb.1097:                             ;   in Loop: Header=BB2_958 Depth=1
	v_add_co_u32 v37, vcc_lo, v24, 8
	v_add_co_ci_u32_e32 v38, vcc_lo, 0, v25, vcc_lo
	v_add_co_u32 v35, vcc_lo, v8, 1
	v_add_co_ci_u32_e32 v36, vcc_lo, 0, v9, vcc_lo
	s_delay_alu instid0(VALU_DEP_1)
	v_cmp_lt_u64_e32 vcc_lo, v[37:38], v[35:36]
	v_mov_b32_e32 v37, 1
	s_and_saveexec_b32 s18, vcc_lo
	s_cbranch_execz .LBB2_1109
; %bb.1098:                             ;   in Loop: Header=BB2_958 Depth=1
	v_mov_b32_e32 v37, 0
	s_mov_b32 s19, 0
                                        ; implicit-def: $sgpr20
	s_branch .LBB2_1102
.LBB2_1099:                             ;   in Loop: Header=BB2_1102 Depth=2
	s_or_b32 exec_lo, exec_lo, s24
	v_mov_b32_e32 v38, 0
	s_or_not1_b32 s23, s23, exec_lo
.LBB2_1100:                             ;   in Loop: Header=BB2_1102 Depth=2
	s_or_b32 exec_lo, exec_lo, s22
	s_delay_alu instid0(VALU_DEP_1) | instskip(SKIP_2) | instid1(SALU_CYCLE_1)
	v_mov_b32_e32 v37, v38
	s_and_not1_b32 s20, s20, exec_lo
	s_and_b32 s22, s23, exec_lo
	s_or_b32 s20, s20, s22
.LBB2_1101:                             ;   in Loop: Header=BB2_1102 Depth=2
	s_or_b32 exec_lo, exec_lo, s21
	s_waitcnt vmcnt(0) lgkmcnt(0)
	v_add_co_u32 v48, vcc_lo, v24, 8
	v_add_co_ci_u32_e32 v49, vcc_lo, 0, v25, vcc_lo
	s_xor_b32 s21, s20, -1
	s_delay_alu instid0(VALU_DEP_1) | instskip(SKIP_1) | instid1(SALU_CYCLE_1)
	v_cmp_ge_u64_e32 vcc_lo, v[48:49], v[35:36]
	s_or_b32 s21, s21, vcc_lo
	s_and_b32 s21, exec_lo, s21
	s_delay_alu instid0(SALU_CYCLE_1) | instskip(NEXT) | instid1(SALU_CYCLE_1)
	s_or_b32 s19, s21, s19
	s_and_not1_b32 exec_lo, exec_lo, s19
	s_cbranch_execz .LBB2_1108
.LBB2_1102:                             ;   Parent Loop BB2_958 Depth=1
                                        ; =>  This Inner Loop Header: Depth=2
	s_sleep 1
	flat_load_b64 v[24:25], v[20:21] glc
	v_and_b32_e32 v38, 64, v30
	s_and_not1_b32 s20, s20, exec_lo
	s_mov_b32 s21, exec_lo
	s_delay_alu instid0(VALU_DEP_1)
	v_cmpx_eq_u32_e32 0, v38
	s_cbranch_execz .LBB2_1101
; %bb.1103:                             ;   in Loop: Header=BB2_1102 Depth=2
	v_add_nc_u32_e32 v38, 1, v37
	s_mov_b32 s23, -1
	s_mov_b32 s22, exec_lo
	v_cmpx_lt_i32_e32 0x270e, v37
	s_cbranch_execz .LBB2_1100
; %bb.1104:                             ;   in Loop: Header=BB2_1102 Depth=2
	s_cbranch_execnz .LBB2_1241
; %bb.1105:                             ;   in Loop: Header=BB2_1102 Depth=2
	ds_load_b64 v[37:38], v0
	s_mov_b32 s24, exec_lo
	s_waitcnt vmcnt(0) lgkmcnt(0)
	s_waitcnt_vscnt null, 0x0
	flat_load_b32 v37, v[37:38] glc
	s_waitcnt vmcnt(0) lgkmcnt(0)
	buffer_gl1_inv
	buffer_gl0_inv
	v_cmpx_ne_u32_e32 0, v37
	s_cbranch_execz .LBB2_1099
; %bb.1106:                             ;   in Loop: Header=BB2_1102 Depth=2
	ds_store_b32 v0, v37
	s_cbranch_execnz .LBB2_1278
; %bb.1107:                             ;   in Loop: Header=BB2_1102 Depth=2
	v_or_b32_e32 v30, 64, v30
	s_xor_b32 s23, exec_lo, -1
	s_branch .LBB2_1099
.LBB2_1108:                             ;   in Loop: Header=BB2_958 Depth=1
	s_or_b32 exec_lo, exec_lo, s19
	v_and_b32_e32 v37, 8, v30
.LBB2_1109:                             ;   in Loop: Header=BB2_958 Depth=1
	s_or_b32 exec_lo, exec_lo, s18
	s_delay_alu instid0(VALU_DEP_1)
	v_cmp_eq_u32_e32 vcc_lo, 0, v37
	;;#ASMSTART
	s_wakeup
	;;#ASMEND
	s_or_not1_b32 s18, vcc_lo, exec_lo
.LBB2_1110:                             ;   in Loop: Header=BB2_958 Depth=1
	s_or_b32 exec_lo, exec_lo, s10
	v_sub_nc_u32_e32 v10, v34, v10
	s_xor_b32 s18, s18, -1
	s_delay_alu instid0(VALU_DEP_1)
	v_min_i32_e32 v34, v39, v10
	s_and_saveexec_b32 s10, s18
	s_cbranch_execz .LBB2_1118
; %bb.1111:                             ;   in Loop: Header=BB2_958 Depth=1
	v_and_b32_e32 v10, 0x100, v30
	s_mov_b32 s19, 0
	s_mov_b32 s18, exec_lo
                                        ; implicit-def: $vgpr38_vgpr39
	s_delay_alu instid0(VALU_DEP_1)
	v_cmpx_ne_u32_e32 0, v10
	s_xor_b32 s18, exec_lo, s18
                                        ; implicit-def: $vgpr36_vgpr37
	s_cbranch_execnz .LBB2_1126
; %bb.1112:                             ;   in Loop: Header=BB2_958 Depth=1
	s_and_not1_saveexec_b32 s18, s18
	s_cbranch_execnz .LBB2_1129
.LBB2_1113:                             ;   in Loop: Header=BB2_958 Depth=1
	s_or_b32 exec_lo, exec_lo, s18
	s_and_saveexec_b32 s18, s19
.LBB2_1114:                             ;   in Loop: Header=BB2_958 Depth=1
	v_mul_lo_u32 v10, v11, v65
	v_mul_lo_u32 v35, v36, v50
	v_mad_u64_u32 v[38:39], null, v36, v65, 0
	s_delay_alu instid0(VALU_DEP_1)
	v_add3_u32 v39, v39, v35, v10
.LBB2_1115:                             ;   in Loop: Header=BB2_958 Depth=1
	s_or_b32 exec_lo, exec_lo, s18
	s_delay_alu instid0(VALU_DEP_1) | instskip(SKIP_2) | instid1(VALU_DEP_2)
	v_lshlrev_b64 v[35:36], 1, v[38:39]
	v_and_b32_e32 v10, 0x2000, v30
	s_mov_b32 s18, exec_lo
	v_add_co_u32 v35, vcc_lo, v22, v35
	s_delay_alu instid0(VALU_DEP_3)
	v_add_co_ci_u32_e32 v36, vcc_lo, v23, v36, vcc_lo
	ds_store_b64 v0, v[35:36] offset:784
	v_cmpx_ne_u32_e32 0, v10
	s_cbranch_execz .LBB2_1117
; %bb.1116:                             ;   in Loop: Header=BB2_958 Depth=1
	ds_load_b64 v[35:36], v0 offset:584
	s_waitcnt lgkmcnt(0)
	v_add_co_u32 v35, vcc_lo, v35, 1
	v_add_co_ci_u32_e32 v36, vcc_lo, 0, v36, vcc_lo
	ds_store_b64 v0, v[35:36] offset:584
.LBB2_1117:                             ;   in Loop: Header=BB2_958 Depth=1
	s_or_b32 exec_lo, exec_lo, s18
	v_add_co_u32 v8, vcc_lo, v8, 1
	v_add_co_ci_u32_e32 v9, vcc_lo, 0, v9, vcc_lo
.LBB2_1118:                             ;   in Loop: Header=BB2_958 Depth=1
	s_or_b32 exec_lo, exec_lo, s10
	s_and_saveexec_b32 s10, s2
	s_cbranch_execz .LBB2_1144
; %bb.1119:                             ;   in Loop: Header=BB2_958 Depth=1
	s_and_saveexec_b32 s18, s3
	s_delay_alu instid0(SALU_CYCLE_1)
	s_xor_b32 s18, exec_lo, s18
	s_cbranch_execz .LBB2_1141
; %bb.1120:                             ;   in Loop: Header=BB2_958 Depth=1
	s_and_saveexec_b32 s19, s4
	s_cbranch_execz .LBB2_1140
; %bb.1121:                             ;   in Loop: Header=BB2_958 Depth=1
	s_mov_b32 s21, exec_lo
	s_mov_b32 s20, exec_lo
	v_mbcnt_lo_u32_b32 v10, s21, 0
	s_waitcnt lgkmcnt(0)
	s_waitcnt_vscnt null, 0x0
	buffer_gl1_inv
	buffer_gl0_inv
	v_cmpx_eq_u32_e32 0, v10
	s_cbranch_execz .LBB2_1123
; %bb.1122:                             ;   in Loop: Header=BB2_958 Depth=1
	s_bcnt1_i32_b32 s21, s21
	s_delay_alu instid0(SALU_CYCLE_1)
	v_mov_b32_e32 v10, s21
	ds_add_u64 v0, v[10:11]
	s_cbranch_execnz .LBB2_1298
.LBB2_1123:                             ;   in Loop: Header=BB2_958 Depth=1
	s_or_b32 exec_lo, exec_lo, s20
	s_cbranch_execnz .LBB2_1282
; %bb.1124:                             ;   in Loop: Header=BB2_958 Depth=1
	ds_load_b64 v[35:36], v0
	v_add_co_u32 v26, vcc_lo, v26, v51
	v_add_co_ci_u32_e32 v27, vcc_lo, 0, v27, vcc_lo
	s_mov_b32 s20, exec_lo
	s_waitcnt lgkmcnt(0)
	s_delay_alu instid0(VALU_DEP_1)
	v_cmpx_lt_u64_e64 v[35:36], v[26:27]
	s_cbranch_execz .LBB2_1139
; %bb.1125:                             ;   in Loop: Header=BB2_958 Depth=1
	s_mov_b32 s21, 0
	s_mov_b32 s24, 0
                                        ; implicit-def: $sgpr22
                                        ; implicit-def: $sgpr23
	s_branch .LBB2_1131
.LBB2_1126:                             ;   in Loop: Header=BB2_958 Depth=1
	v_and_b32_e32 v36, 7, v8
	v_ashrrev_i32_e32 v35, 31, v34
	s_mov_b32 s19, -1
	s_mov_b32 s20, exec_lo
	s_delay_alu instid0(VALU_DEP_2) | instskip(NEXT) | instid1(VALU_DEP_2)
	v_mad_u64_u32 v[48:49], null, v36, 24, v[6:7]
	v_lshlrev_b64 v[37:38], 1, v[34:35]
	flat_load_b32 v10, v[48:49]
	flat_store_b64 v[48:49], v[37:38] offset:8
                                        ; implicit-def: $vgpr38_vgpr39
	s_waitcnt vmcnt(0) lgkmcnt(1)
	v_cmpx_eq_u32_e32 1, v10
	s_cbranch_execz .LBB2_1128
; %bb.1127:                             ;   in Loop: Header=BB2_958 Depth=1
	flat_load_b32 v35, v[48:49] offset:4 glc
	s_xor_b32 s19, exec_lo, -1
	s_waitcnt vmcnt(0) lgkmcnt(0)
	v_ashrrev_i32_e32 v36, 31, v35
	s_delay_alu instid0(VALU_DEP_1)
	v_lshrrev_b64 v[38:39], 1, v[35:36]
                                        ; implicit-def: $vgpr36_vgpr37
.LBB2_1128:                             ;   in Loop: Header=BB2_958 Depth=1
	s_or_b32 exec_lo, exec_lo, s20
	s_delay_alu instid0(SALU_CYCLE_1)
	s_and_b32 s19, s19, exec_lo
	s_and_not1_saveexec_b32 s18, s18
	s_cbranch_execz .LBB2_1113
.LBB2_1129:                             ;   in Loop: Header=BB2_958 Depth=1
	v_and_b32_e32 v36, 7, v8
	s_or_b32 s19, s19, exec_lo
                                        ; implicit-def: $vgpr38_vgpr39
	s_or_b32 exec_lo, exec_lo, s18
	s_and_saveexec_b32 s18, s19
	s_cbranch_execnz .LBB2_1114
	s_branch .LBB2_1115
.LBB2_1130:                             ;   in Loop: Header=BB2_1131 Depth=2
	s_or_b32 exec_lo, exec_lo, s27
	s_delay_alu instid0(SALU_CYCLE_1) | instskip(NEXT) | instid1(SALU_CYCLE_1)
	s_and_b32 s25, exec_lo, s26
	s_or_b32 s21, s25, s21
	s_and_not1_b32 s22, s22, exec_lo
	s_and_b32 s25, s23, exec_lo
	s_delay_alu instid0(SALU_CYCLE_1)
	s_or_b32 s22, s22, s25
	s_and_not1_b32 exec_lo, exec_lo, s21
	s_cbranch_execz .LBB2_1137
.LBB2_1131:                             ;   Parent Loop BB2_958 Depth=1
                                        ; =>  This Inner Loop Header: Depth=2
	s_add_i32 s24, s24, 1
                                        ; implicit-def: $sgpr26
	s_delay_alu instid0(SALU_CYCLE_1) | instskip(SKIP_1) | instid1(SALU_CYCLE_1)
	s_cmpk_lg_i32 s24, 0x2710
	s_cselect_b32 s25, -1, 0
	s_and_b32 vcc_lo, exec_lo, s25
	s_cbranch_vccz .LBB2_1135
.LBB2_1132:                             ;   in Loop: Header=BB2_1131 Depth=2
	s_and_not1_b32 s23, s23, exec_lo
	s_and_b32 s27, s26, exec_lo
	s_mov_b32 s26, -1
	s_or_b32 s23, s23, s27
	s_and_saveexec_b32 s27, s25
	s_cbranch_execz .LBB2_1130
; %bb.1133:                             ;   in Loop: Header=BB2_1131 Depth=2
	s_sleep 1
	s_cbranch_execnz .LBB2_1334
; %bb.1134:                             ;   in Loop: Header=BB2_1131 Depth=2
	ds_load_b64 v[35:36], v0
	s_and_not1_b32 s23, s23, exec_lo
	s_waitcnt lgkmcnt(0)
	v_cmp_ge_u64_e32 vcc_lo, v[35:36], v[26:27]
	s_or_not1_b32 s26, vcc_lo, exec_lo
	s_branch .LBB2_1130
.LBB2_1135:                             ;   in Loop: Header=BB2_1131 Depth=2
	s_cbranch_execnz .LBB2_1338
; %bb.1136:                             ;   in Loop: Header=BB2_1131 Depth=2
	ds_load_b64 v[35:36], v0
	s_and_not1_b32 s25, s25, exec_lo
	s_mov_b32 s24, 0
	s_mov_b32 s26, -1
	s_waitcnt lgkmcnt(0)
	flat_load_b32 v10, v[35:36] glc
	s_waitcnt vmcnt(0) lgkmcnt(0)
	buffer_gl1_inv
	buffer_gl0_inv
	v_cmp_eq_u32_e32 vcc_lo, 0, v10
	s_and_b32 s27, vcc_lo, exec_lo
	s_delay_alu instid0(SALU_CYCLE_1)
	s_or_b32 s25, s25, s27
	s_branch .LBB2_1132
.LBB2_1137:                             ;   in Loop: Header=BB2_958 Depth=1
	s_or_b32 exec_lo, exec_lo, s21
	s_and_saveexec_b32 s21, s22
	s_delay_alu instid0(SALU_CYCLE_1)
	s_xor_b32 s21, exec_lo, s21
	s_cbranch_execz .LBB2_1139
; %bb.1138:                             ;   in Loop: Header=BB2_958 Depth=1
	ds_store_b32 v0, v82
	s_cbranch_execnz .LBB2_1428
.LBB2_1139:                             ;   in Loop: Header=BB2_958 Depth=1
	s_or_b32 exec_lo, exec_lo, s20
	;;#ASMSTART
	s_wakeup
	;;#ASMEND
.LBB2_1140:                             ;   in Loop: Header=BB2_958 Depth=1
	s_or_b32 exec_lo, exec_lo, s19
.LBB2_1141:                             ;   in Loop: Header=BB2_958 Depth=1
	s_and_not1_saveexec_b32 s18, s18
	s_cbranch_execz .LBB2_1143
; %bb.1142:                             ;   in Loop: Header=BB2_958 Depth=1
	s_waitcnt lgkmcnt(0)
	s_waitcnt_vscnt null, 0x0
	buffer_gl1_inv
	buffer_gl0_inv
	s_barrier
.LBB2_1143:                             ;   in Loop: Header=BB2_958 Depth=1
	s_or_b32 exec_lo, exec_lo, s18
.LBB2_1144:                             ;   in Loop: Header=BB2_958 Depth=1
	s_delay_alu instid0(SALU_CYCLE_1)
	s_or_b32 exec_lo, exec_lo, s10
	s_cbranch_execnz .LBB2_1227
; %bb.1145:                             ;   in Loop: Header=BB2_958 Depth=1
	ds_load_b32 v10, v0
	v_cmp_lt_i32_e32 vcc_lo, 0, v34
	s_waitcnt lgkmcnt(0)
	v_readfirstlane_b32 s10, v10
	v_and_b32_e32 v10, 16, v30
	s_delay_alu instid0(VALU_DEP_2) | instskip(NEXT) | instid1(VALU_DEP_1)
	s_cmp_eq_u32 s10, 0
	v_cmp_ne_u32_e64 s10, 0, v10
	s_cselect_b32 s18, -1, 0
	s_delay_alu instid0(SALU_CYCLE_1)
	s_and_b32 s18, vcc_lo, s18
	s_delay_alu instid0(VALU_DEP_1) | instid1(SALU_CYCLE_1)
	s_and_b32 s18, s10, s18
	s_delay_alu instid0(SALU_CYCLE_1)
	s_and_saveexec_b32 s10, s18
	s_cbranch_execz .LBB2_1147
; %bb.1146:                             ;   in Loop: Header=BB2_958 Depth=1
	s_waitcnt_vscnt null, 0x0
	buffer_gl1_inv
	buffer_gl0_inv
.LBB2_1147:                             ;   in Loop: Header=BB2_958 Depth=1
	s_or_b32 exec_lo, exec_lo, s10
	s_delay_alu instid0(SALU_CYCLE_1)
	s_mov_b32 s10, exec_lo
	v_cmpx_ne_u32_e32 0, v10
	s_cbranch_execz .LBB2_1151
; %bb.1148:                             ;   in Loop: Header=BB2_958 Depth=1
	s_and_saveexec_b32 s18, s7
	s_cbranch_execz .LBB2_1150
; %bb.1149:                             ;   in Loop: Header=BB2_958 Depth=1
	s_waitcnt_vscnt null, 0x0
	flat_store_b32 v[32:33], v82
.LBB2_1150:                             ;   in Loop: Header=BB2_958 Depth=1
	s_or_b32 exec_lo, exec_lo, s18
	v_add_co_u32 v8, vcc_lo, v8, 1
	v_add_co_ci_u32_e32 v9, vcc_lo, 0, v9, vcc_lo
	s_waitcnt lgkmcnt(0)
	s_waitcnt_vscnt null, 0x0
	flat_store_b64 v[20:21], v[8:9]
.LBB2_1151:                             ;   in Loop: Header=BB2_958 Depth=1
	s_or_b32 exec_lo, exec_lo, s10
.LBB2_1152:                             ;   in Loop: Header=BB2_958 Depth=1
	s_delay_alu instid0(SALU_CYCLE_1) | instskip(SKIP_2) | instid1(VALU_DEP_1)
	s_or_b32 exec_lo, exec_lo, s11
	v_add_co_u32 v14, vcc_lo, v14, v28
	v_add_co_ci_u32_e32 v15, vcc_lo, 0, v15, vcc_lo
	v_cmp_ge_u64_e32 vcc_lo, v[14:15], v[4:5]
	s_or_b32 s14, vcc_lo, s14
	s_delay_alu instid0(SALU_CYCLE_1)
	s_and_not1_b32 exec_lo, exec_lo, s14
	s_cbranch_execnz .LBB2_958
; %bb.1153:
	s_or_b32 exec_lo, exec_lo, s14
.LBB2_1154:
	s_delay_alu instid0(SALU_CYCLE_1)
	s_or_b32 exec_lo, exec_lo, s13
.LBB2_1155:
	s_delay_alu instid0(SALU_CYCLE_1) | instskip(SKIP_2) | instid1(VALU_DEP_1)
	s_or_b32 exec_lo, exec_lo, s12
	v_and_b32_e32 v0, 0x800, v30
	s_mov_b32 s0, exec_lo
	v_cmpx_eq_u32_e32 0, v0
	s_cbranch_execz .LBB2_1370
; %bb.1156:
	v_and_b32_e32 v0, 48, v30
	s_mov_b32 s1, exec_lo
	s_delay_alu instid0(VALU_DEP_1)
	v_cmpx_ne_u32_e32 0, v0
	s_cbranch_execz .LBB2_1158
; %bb.1157:
	flat_store_b64 v[18:19], v[8:9] offset:104
.LBB2_1158:
	s_or_b32 exec_lo, exec_lo, s1
	v_and_b32_e32 v0, 0x88, v30
	s_mov_b32 s1, exec_lo
	s_delay_alu instid0(VALU_DEP_1)
	v_cmpx_eq_u32_e32 0x88, v0
	s_cbranch_execz .LBB2_1208
; %bb.1159:
	v_add_nc_u32_e32 v0, -1, v8
	s_mov_b32 s2, 0
                                        ; implicit-def: $sgpr3
	s_delay_alu instid0(VALU_DEP_1) | instskip(NEXT) | instid1(VALU_DEP_1)
	v_and_b32_e32 v0, 7, v0
	v_mad_u64_u32 v[4:5], null, v0, 24, v[6:7]
	v_mov_b32_e32 v0, 0
	s_delay_alu instid0(VALU_DEP_2) | instskip(NEXT) | instid1(VALU_DEP_3)
	v_add_co_u32 v4, vcc_lo, v4, 8
	v_add_co_ci_u32_e32 v5, vcc_lo, 0, v5, vcc_lo
	s_branch .LBB2_1192
.LBB2_1160:
	s_trap 2
	s_sendmsg_rtn_b32 s0, sendmsg(MSG_RTN_GET_DOORBELL)
	s_mov_b32 ttmp2, m0
	s_waitcnt lgkmcnt(0)
	s_and_b32 s0, s0, 0x3ff
	s_delay_alu instid0(SALU_CYCLE_1) | instskip(NEXT) | instid1(SALU_CYCLE_1)
	s_bitset1_b32 s0, 10
	s_mov_b32 m0, s0
	s_sendmsg sendmsg(MSG_INTERRUPT)
	s_mov_b32 m0, ttmp2
.LBB2_1161:                             ; =>This Inner Loop Header: Depth=1
	s_sethalt 5
	s_branch .LBB2_1161
.LBB2_1162:
	v_bfe_u32 v10, v6, 8, 8
	v_not_b32_e32 v8, v8
	s_mov_b32 s1, exec_lo
                                        ; implicit-def: $vgpr17_vgpr18
                                        ; implicit-def: $vgpr4_vgpr5
                                        ; implicit-def: $vgpr34_vgpr35
	s_delay_alu instid0(VALU_DEP_2)
	v_cmpx_ne_u32_e64 v10, v9
	s_xor_b32 s1, exec_lo, s1
	s_cbranch_execz .LBB2_1164
; %bb.1163:
	s_clause 0x1
	flat_load_b128 v[4:7], v[2:3] offset:72
	flat_load_b64 v[10:11], v[2:3] offset:96
	v_add_nc_u32_e32 v8, v9, v8
	s_delay_alu instid0(VALU_DEP_1) | instskip(SKIP_1) | instid1(VALU_DEP_1)
	v_ashrrev_i32_e32 v9, 31, v8
	s_waitcnt vmcnt(1) lgkmcnt(1)
	v_mul_lo_u32 v9, v6, v9
	v_mad_u64_u32 v[34:35], null, v6, v8, v[4:5]
	v_mul_lo_u32 v4, v7, v8
	s_waitcnt vmcnt(0) lgkmcnt(0)
	v_lshrrev_b64 v[17:18], 13, v[10:11]
                                        ; implicit-def: $vgpr10
                                        ; implicit-def: $vgpr8
	s_delay_alu instid0(VALU_DEP_2)
	v_add3_u32 v35, v4, v35, v9
	v_dual_mov_b32 v4, v6 :: v_dual_mov_b32 v5, v7
.LBB2_1164:
	s_and_not1_saveexec_b32 s1, s1
	s_cbranch_execz .LBB2_1166
; %bb.1165:
	s_clause 0x1
	flat_load_b128 v[17:20], v[2:3] offset:72
	flat_load_b128 v[4:7], v[2:3] offset:88
	s_waitcnt vmcnt(0) lgkmcnt(0)
	v_add_nc_u32_e32 v6, v10, v8
	s_delay_alu instid0(VALU_DEP_1) | instskip(NEXT) | instid1(VALU_DEP_1)
	v_ashrrev_i32_e32 v8, 31, v6
	v_mul_lo_u32 v8, v19, v8
	v_mad_u64_u32 v[34:35], null, v19, v6, v[17:18]
	v_mul_lo_u32 v6, v20, v6
	v_lshrrev_b32_e32 v17, 2, v7
	s_delay_alu instid0(VALU_DEP_2)
	v_add3_u32 v35, v6, v35, v8
.LBB2_1166:
	s_or_b32 exec_lo, exec_lo, s1
	s_and_not1_saveexec_b32 s0, s0
	s_cbranch_execz .LBB2_3
.LBB2_1167:
	s_clause 0x1
	flat_load_b64 v[6:7], v[2:3] offset:96
	flat_load_b64 v[4:5], v[2:3] offset:72
	v_mov_b32_e32 v34, 0
	v_mov_b32_e32 v35, 0
	s_waitcnt vmcnt(1) lgkmcnt(1)
	v_lshlrev_b64 v[17:18], 8, v[6:7]
	s_or_b32 exec_lo, exec_lo, s0
	s_cbranch_execz .LBB2_4
.LBB2_1168:
	s_trap 2
	s_sendmsg_rtn_b32 s0, sendmsg(MSG_RTN_GET_DOORBELL)
	s_mov_b32 ttmp2, m0
	s_waitcnt lgkmcnt(0)
	s_and_b32 s0, s0, 0x3ff
	s_delay_alu instid0(SALU_CYCLE_1) | instskip(NEXT) | instid1(SALU_CYCLE_1)
	s_bitset1_b32 s0, 10
	s_mov_b32 m0, s0
	s_sendmsg sendmsg(MSG_INTERRUPT)
	s_mov_b32 m0, ttmp2
.LBB2_1169:                             ; =>This Inner Loop Header: Depth=1
	s_sethalt 5
	s_branch .LBB2_1169
.LBB2_1170:
	s_trap 2
	s_sendmsg_rtn_b32 s0, sendmsg(MSG_RTN_GET_DOORBELL)
	s_mov_b32 ttmp2, m0
	s_waitcnt lgkmcnt(0)
	s_and_b32 s0, s0, 0x3ff
	s_delay_alu instid0(SALU_CYCLE_1) | instskip(NEXT) | instid1(SALU_CYCLE_1)
	s_bitset1_b32 s0, 10
	s_mov_b32 m0, s0
	s_sendmsg sendmsg(MSG_INTERRUPT)
	s_mov_b32 m0, ttmp2
.LBB2_1171:                             ; =>This Inner Loop Header: Depth=1
	s_sethalt 5
	s_branch .LBB2_1171
.LBB2_1172:
	s_trap 2
	s_sendmsg_rtn_b32 s0, sendmsg(MSG_RTN_GET_DOORBELL)
	s_mov_b32 ttmp2, m0
	s_waitcnt lgkmcnt(0)
	s_and_b32 s0, s0, 0x3ff
	s_delay_alu instid0(SALU_CYCLE_1) | instskip(NEXT) | instid1(SALU_CYCLE_1)
	s_bitset1_b32 s0, 10
	s_mov_b32 m0, s0
	s_sendmsg sendmsg(MSG_INTERRUPT)
	s_mov_b32 m0, ttmp2
.LBB2_1173:                             ; =>This Inner Loop Header: Depth=1
	s_sethalt 5
	s_branch .LBB2_1173
.LBB2_1174:
	s_trap 2
	s_sendmsg_rtn_b32 s0, sendmsg(MSG_RTN_GET_DOORBELL)
	s_mov_b32 ttmp2, m0
	s_waitcnt lgkmcnt(0)
	s_and_b32 s0, s0, 0x3ff
	s_delay_alu instid0(SALU_CYCLE_1) | instskip(NEXT) | instid1(SALU_CYCLE_1)
	s_bitset1_b32 s0, 10
	s_mov_b32 m0, s0
	s_sendmsg sendmsg(MSG_INTERRUPT)
	s_mov_b32 m0, ttmp2
.LBB2_1175:                             ; =>This Inner Loop Header: Depth=1
	s_sethalt 5
	s_branch .LBB2_1175
.LBB2_1176:
	s_trap 2
	s_sendmsg_rtn_b32 s0, sendmsg(MSG_RTN_GET_DOORBELL)
	s_mov_b32 ttmp2, m0
	s_waitcnt lgkmcnt(0)
	s_and_b32 s0, s0, 0x3ff
	s_delay_alu instid0(SALU_CYCLE_1) | instskip(NEXT) | instid1(SALU_CYCLE_1)
	s_bitset1_b32 s0, 10
	s_mov_b32 m0, s0
	s_sendmsg sendmsg(MSG_INTERRUPT)
	s_mov_b32 m0, ttmp2
.LBB2_1177:                             ; =>This Inner Loop Header: Depth=1
	s_sethalt 5
	s_branch .LBB2_1177
.LBB2_1178:
	s_trap 2
	s_sendmsg_rtn_b32 s0, sendmsg(MSG_RTN_GET_DOORBELL)
	s_mov_b32 ttmp2, m0
	s_waitcnt lgkmcnt(0)
	s_and_b32 s0, s0, 0x3ff
	s_delay_alu instid0(SALU_CYCLE_1) | instskip(NEXT) | instid1(SALU_CYCLE_1)
	s_bitset1_b32 s0, 10
	s_mov_b32 m0, s0
	s_sendmsg sendmsg(MSG_INTERRUPT)
	s_mov_b32 m0, ttmp2
.LBB2_1179:                             ; =>This Inner Loop Header: Depth=1
	s_sethalt 5
	s_branch .LBB2_1179
.LBB2_1180:
	s_trap 2
	s_sendmsg_rtn_b32 s0, sendmsg(MSG_RTN_GET_DOORBELL)
	s_mov_b32 ttmp2, m0
	s_waitcnt lgkmcnt(0)
	s_and_b32 s0, s0, 0x3ff
	s_delay_alu instid0(SALU_CYCLE_1) | instskip(NEXT) | instid1(SALU_CYCLE_1)
	s_bitset1_b32 s0, 10
	s_mov_b32 m0, s0
	s_sendmsg sendmsg(MSG_INTERRUPT)
	s_mov_b32 m0, ttmp2
.LBB2_1181:                             ; =>This Inner Loop Header: Depth=1
	s_sethalt 5
	s_branch .LBB2_1181
.LBB2_1182:
	s_trap 2
	s_sendmsg_rtn_b32 s0, sendmsg(MSG_RTN_GET_DOORBELL)
	s_mov_b32 ttmp2, m0
	s_waitcnt lgkmcnt(0)
	s_and_b32 s0, s0, 0x3ff
	s_delay_alu instid0(SALU_CYCLE_1) | instskip(NEXT) | instid1(SALU_CYCLE_1)
	s_bitset1_b32 s0, 10
	s_mov_b32 m0, s0
	s_sendmsg sendmsg(MSG_INTERRUPT)
	s_mov_b32 m0, ttmp2
.LBB2_1183:                             ; =>This Inner Loop Header: Depth=1
	s_sethalt 5
	s_branch .LBB2_1183
.LBB2_1184:
	s_trap 2
	s_sendmsg_rtn_b32 s0, sendmsg(MSG_RTN_GET_DOORBELL)
	s_mov_b32 ttmp2, m0
	s_waitcnt lgkmcnt(0)
	s_and_b32 s0, s0, 0x3ff
	s_delay_alu instid0(SALU_CYCLE_1) | instskip(NEXT) | instid1(SALU_CYCLE_1)
	s_bitset1_b32 s0, 10
	s_mov_b32 m0, s0
	s_sendmsg sendmsg(MSG_INTERRUPT)
	s_mov_b32 m0, ttmp2
.LBB2_1185:                             ; =>This Inner Loop Header: Depth=1
	s_sethalt 5
	s_branch .LBB2_1185
.LBB2_1186:
	s_trap 2
	s_sendmsg_rtn_b32 s0, sendmsg(MSG_RTN_GET_DOORBELL)
	s_mov_b32 ttmp2, m0
	s_waitcnt lgkmcnt(0)
	s_and_b32 s0, s0, 0x3ff
	s_delay_alu instid0(SALU_CYCLE_1) | instskip(NEXT) | instid1(SALU_CYCLE_1)
	s_bitset1_b32 s0, 10
	s_mov_b32 m0, s0
	s_sendmsg sendmsg(MSG_INTERRUPT)
	s_mov_b32 m0, ttmp2
.LBB2_1187:                             ; =>This Inner Loop Header: Depth=1
	s_sethalt 5
	s_branch .LBB2_1187
.LBB2_1188:                             ;   in Loop: Header=BB2_1192 Depth=1
	s_or_b32 exec_lo, exec_lo, s10
	v_mov_b32_e32 v6, 0
	s_or_not1_b32 s7, s7, exec_lo
.LBB2_1189:                             ;   in Loop: Header=BB2_1192 Depth=1
	s_or_b32 exec_lo, exec_lo, s6
	s_delay_alu instid0(VALU_DEP_1)
	v_mov_b32_e32 v0, v6
	s_and_b32 s6, s7, exec_lo
.LBB2_1190:                             ;   in Loop: Header=BB2_1192 Depth=1
	s_or_b32 exec_lo, exec_lo, s5
	s_xor_b32 s5, s6, -1
	s_and_not1_b32 s3, s3, exec_lo
	s_and_b32 s5, s5, exec_lo
	s_delay_alu instid0(SALU_CYCLE_1)
	s_or_b32 s3, s3, s5
.LBB2_1191:                             ;   in Loop: Header=BB2_1192 Depth=1
	s_or_b32 exec_lo, exec_lo, s4
	s_delay_alu instid0(SALU_CYCLE_1) | instskip(NEXT) | instid1(SALU_CYCLE_1)
	s_and_b32 s4, exec_lo, s3
	s_or_b32 s2, s4, s2
	s_delay_alu instid0(SALU_CYCLE_1)
	s_and_not1_b32 exec_lo, exec_lo, s2
	s_cbranch_execz .LBB2_1207
.LBB2_1192:                             ; =>This Inner Loop Header: Depth=1
	flat_load_b64 v[6:7], v[4:5] glc dlc
	s_waitcnt vmcnt(0)
	s_or_b32 s3, s3, exec_lo
	s_mov_b32 s4, exec_lo
	s_waitcnt lgkmcnt(0)
	v_cmpx_ne_u64_e32 -1, v[6:7]
	s_cbranch_execz .LBB2_1191
; %bb.1193:                             ;   in Loop: Header=BB2_1192 Depth=1
	v_and_b32_e32 v6, 64, v30
	s_mov_b32 s6, 0
	s_mov_b32 s5, exec_lo
	s_delay_alu instid0(VALU_DEP_1)
	v_cmpx_eq_u32_e32 0, v6
	s_cbranch_execz .LBB2_1190
; %bb.1194:                             ;   in Loop: Header=BB2_1192 Depth=1
	v_add_nc_u32_e32 v6, 1, v0
	s_mov_b32 s7, -1
	s_mov_b32 s6, exec_lo
	v_cmpx_lt_i32_e32 0x270e, v0
	s_cbranch_execz .LBB2_1189
; %bb.1195:                             ;   in Loop: Header=BB2_1192 Depth=1
	s_cbranch_execnz .LBB2_1199
; %bb.1196:                             ;   in Loop: Header=BB2_1192 Depth=1
	ds_load_b64 v[6:7], v0
	s_mov_b32 s10, exec_lo
	s_waitcnt lgkmcnt(0)
	s_waitcnt_vscnt null, 0x0
	flat_load_b32 v0, v[6:7] glc
	s_waitcnt vmcnt(0) lgkmcnt(0)
	buffer_gl1_inv
	buffer_gl0_inv
	v_cmpx_ne_u32_e32 0, v0
	s_cbranch_execz .LBB2_1188
; %bb.1197:                             ;   in Loop: Header=BB2_1192 Depth=1
	ds_store_b32 v0, v0
	s_cbranch_execnz .LBB2_1221
; %bb.1198:                             ;   in Loop: Header=BB2_1192 Depth=1
	v_or_b32_e32 v30, 64, v30
	s_xor_b32 s7, exec_lo, -1
	s_branch .LBB2_1188
.LBB2_1199:
	s_trap 2
	s_sendmsg_rtn_b32 s0, sendmsg(MSG_RTN_GET_DOORBELL)
	s_mov_b32 ttmp2, m0
	s_waitcnt lgkmcnt(0)
	s_and_b32 s0, s0, 0x3ff
	s_delay_alu instid0(SALU_CYCLE_1) | instskip(NEXT) | instid1(SALU_CYCLE_1)
	s_bitset1_b32 s0, 10
	s_mov_b32 m0, s0
	s_sendmsg sendmsg(MSG_INTERRUPT)
	s_mov_b32 m0, ttmp2
.LBB2_1200:                             ; =>This Inner Loop Header: Depth=1
	s_sethalt 5
	s_branch .LBB2_1200
.LBB2_1201:
	s_trap 2
	s_sendmsg_rtn_b32 s0, sendmsg(MSG_RTN_GET_DOORBELL)
	s_mov_b32 ttmp2, m0
	s_waitcnt lgkmcnt(0)
	s_and_b32 s0, s0, 0x3ff
	s_delay_alu instid0(SALU_CYCLE_1) | instskip(NEXT) | instid1(SALU_CYCLE_1)
	s_bitset1_b32 s0, 10
	s_mov_b32 m0, s0
	s_sendmsg sendmsg(MSG_INTERRUPT)
	s_mov_b32 m0, ttmp2
.LBB2_1202:                             ; =>This Inner Loop Header: Depth=1
	s_sethalt 5
	s_branch .LBB2_1202
.LBB2_1203:
	s_trap 2
	s_sendmsg_rtn_b32 s0, sendmsg(MSG_RTN_GET_DOORBELL)
	s_mov_b32 ttmp2, m0
	s_waitcnt lgkmcnt(0)
	s_and_b32 s0, s0, 0x3ff
	s_delay_alu instid0(SALU_CYCLE_1) | instskip(NEXT) | instid1(SALU_CYCLE_1)
	s_bitset1_b32 s0, 10
	s_mov_b32 m0, s0
	s_sendmsg sendmsg(MSG_INTERRUPT)
	s_mov_b32 m0, ttmp2
.LBB2_1204:                             ; =>This Inner Loop Header: Depth=1
	s_sethalt 5
	s_branch .LBB2_1204
.LBB2_1205:
	s_trap 2
	s_sendmsg_rtn_b32 s0, sendmsg(MSG_RTN_GET_DOORBELL)
	s_mov_b32 ttmp2, m0
	s_waitcnt lgkmcnt(0)
	s_and_b32 s0, s0, 0x3ff
	s_delay_alu instid0(SALU_CYCLE_1) | instskip(NEXT) | instid1(SALU_CYCLE_1)
	s_bitset1_b32 s0, 10
	s_mov_b32 m0, s0
	s_sendmsg sendmsg(MSG_INTERRUPT)
	s_mov_b32 m0, ttmp2
.LBB2_1206:                             ; =>This Inner Loop Header: Depth=1
	s_sethalt 5
	s_branch .LBB2_1206
.LBB2_1207:
	s_or_b32 exec_lo, exec_lo, s2
.LBB2_1208:
	s_delay_alu instid0(SALU_CYCLE_1) | instskip(SKIP_2) | instid1(VALU_DEP_1)
	s_or_b32 exec_lo, exec_lo, s1
	v_and_b32_e32 v0, 0x2000, v30
	s_mov_b32 s1, exec_lo
	v_cmpx_ne_u32_e32 0, v0
	s_cbranch_execz .LBB2_1211
; %bb.1209:
	s_cbranch_execnz .LBB2_1219
; %bb.1210:
	ds_load_b64 v[4:5], v0
	s_waitcnt lgkmcnt(0)
	flat_store_b64 v[2:3], v[4:5] offset:16
.LBB2_1211:
	s_or_b32 exec_lo, exec_lo, s1
	v_cmp_ne_u32_e32 vcc_lo, 32, v1
	s_and_b32 exec_lo, exec_lo, vcc_lo
	s_cbranch_execz .LBB2_1370
; %bb.1212:
	s_mov_b32 s1, exec_lo
	v_cmpx_ne_u32_e64 v64, v1
	s_xor_b32 s1, exec_lo, s1
	s_cbranch_execz .LBB2_1368
; %bb.1213:
	v_and_b32_e32 v0, 31, v31
	s_mov_b32 s2, exec_lo
	s_delay_alu instid0(VALU_DEP_1)
	v_cmpx_eq_u32_e32 0, v0
	s_cbranch_execz .LBB2_1367
; %bb.1214:
	s_mov_b32 s4, exec_lo
	s_mov_b32 s3, exec_lo
	v_mbcnt_lo_u32_b32 v0, s4, 0
	s_waitcnt lgkmcnt(0)
	s_waitcnt_vscnt null, 0x0
	buffer_gl1_inv
	buffer_gl0_inv
	v_cmpx_eq_u32_e32 0, v0
	s_cbranch_execz .LBB2_1216
; %bb.1215:
	s_bcnt1_i32_b32 s4, s4
	s_delay_alu instid0(SALU_CYCLE_1)
	v_dual_mov_b32 v3, 0 :: v_dual_mov_b32 v2, s4
	ds_add_u64 v0, v[2:3]
	s_cbranch_execnz .LBB2_1264
.LBB2_1216:
	s_or_b32 exec_lo, exec_lo, s3
	s_cbranch_execnz .LBB2_1247
; %bb.1217:
	v_ashrrev_i32_e32 v0, 31, v1
	s_mov_b32 s3, exec_lo
	s_delay_alu instid0(VALU_DEP_1) | instskip(NEXT) | instid1(VALU_DEP_1)
	v_lshrrev_b32_e32 v0, 27, v0
	v_add_nc_u32_e32 v0, v1, v0
	ds_load_b64 v[2:3], v0
	v_ashrrev_i32_e32 v0, 5, v0
	s_delay_alu instid0(VALU_DEP_1) | instskip(SKIP_1) | instid1(VALU_DEP_2)
	v_ashrrev_i32_e32 v1, 31, v0
	v_add_co_u32 v0, vcc_lo, v26, v0
	v_add_co_ci_u32_e32 v1, vcc_lo, v27, v1, vcc_lo
	s_waitcnt lgkmcnt(0)
	s_delay_alu instid0(VALU_DEP_1)
	v_cmpx_lt_u64_e64 v[2:3], v[0:1]
	s_cbranch_execz .LBB2_1366
; %bb.1218:
	s_mov_b32 s4, 0
	s_mov_b32 s7, 0
                                        ; implicit-def: $sgpr5
                                        ; implicit-def: $sgpr6
	s_branch .LBB2_1254
.LBB2_1219:
	s_trap 2
	s_sendmsg_rtn_b32 s0, sendmsg(MSG_RTN_GET_DOORBELL)
	s_mov_b32 ttmp2, m0
	s_waitcnt lgkmcnt(0)
	s_and_b32 s0, s0, 0x3ff
	s_delay_alu instid0(SALU_CYCLE_1) | instskip(NEXT) | instid1(SALU_CYCLE_1)
	s_bitset1_b32 s0, 10
	s_mov_b32 m0, s0
	s_sendmsg sendmsg(MSG_INTERRUPT)
	s_mov_b32 m0, ttmp2
.LBB2_1220:                             ; =>This Inner Loop Header: Depth=1
	s_sethalt 5
	s_branch .LBB2_1220
.LBB2_1221:
	s_trap 2
	s_sendmsg_rtn_b32 s0, sendmsg(MSG_RTN_GET_DOORBELL)
	s_mov_b32 ttmp2, m0
	s_waitcnt lgkmcnt(0)
	s_and_b32 s0, s0, 0x3ff
	s_delay_alu instid0(SALU_CYCLE_1) | instskip(NEXT) | instid1(SALU_CYCLE_1)
	s_bitset1_b32 s0, 10
	s_mov_b32 m0, s0
	s_sendmsg sendmsg(MSG_INTERRUPT)
	s_mov_b32 m0, ttmp2
.LBB2_1222:                             ; =>This Inner Loop Header: Depth=1
	s_sethalt 5
	s_branch .LBB2_1222
.LBB2_1223:
	s_trap 2
	s_sendmsg_rtn_b32 s0, sendmsg(MSG_RTN_GET_DOORBELL)
	s_mov_b32 ttmp2, m0
	s_waitcnt lgkmcnt(0)
	s_and_b32 s0, s0, 0x3ff
	s_delay_alu instid0(SALU_CYCLE_1) | instskip(NEXT) | instid1(SALU_CYCLE_1)
	s_bitset1_b32 s0, 10
	s_mov_b32 m0, s0
	s_sendmsg sendmsg(MSG_INTERRUPT)
	s_mov_b32 m0, ttmp2
.LBB2_1224:                             ; =>This Inner Loop Header: Depth=1
	s_sethalt 5
	s_branch .LBB2_1224
.LBB2_1225:
	s_trap 2
	s_sendmsg_rtn_b32 s0, sendmsg(MSG_RTN_GET_DOORBELL)
	s_mov_b32 ttmp2, m0
	s_waitcnt lgkmcnt(0)
	s_and_b32 s0, s0, 0x3ff
	s_delay_alu instid0(SALU_CYCLE_1) | instskip(NEXT) | instid1(SALU_CYCLE_1)
	s_bitset1_b32 s0, 10
	s_mov_b32 m0, s0
	s_sendmsg sendmsg(MSG_INTERRUPT)
	s_mov_b32 m0, ttmp2
.LBB2_1226:                             ; =>This Inner Loop Header: Depth=1
	s_sethalt 5
	s_branch .LBB2_1226
.LBB2_1227:
	s_trap 2
	s_sendmsg_rtn_b32 s0, sendmsg(MSG_RTN_GET_DOORBELL)
	s_mov_b32 ttmp2, m0
	s_waitcnt lgkmcnt(0)
	s_and_b32 s0, s0, 0x3ff
	s_delay_alu instid0(SALU_CYCLE_1) | instskip(NEXT) | instid1(SALU_CYCLE_1)
	s_bitset1_b32 s0, 10
	s_mov_b32 m0, s0
	s_sendmsg sendmsg(MSG_INTERRUPT)
	s_mov_b32 m0, ttmp2
.LBB2_1228:                             ; =>This Inner Loop Header: Depth=1
	s_sethalt 5
	s_branch .LBB2_1228
.LBB2_1229:
	s_trap 2
	s_sendmsg_rtn_b32 s0, sendmsg(MSG_RTN_GET_DOORBELL)
	s_mov_b32 ttmp2, m0
	s_waitcnt lgkmcnt(0)
	s_and_b32 s0, s0, 0x3ff
	s_delay_alu instid0(SALU_CYCLE_1) | instskip(NEXT) | instid1(SALU_CYCLE_1)
	s_bitset1_b32 s0, 10
	s_mov_b32 m0, s0
	s_sendmsg sendmsg(MSG_INTERRUPT)
	s_mov_b32 m0, ttmp2
.LBB2_1230:                             ; =>This Inner Loop Header: Depth=1
	s_sethalt 5
	s_branch .LBB2_1230
.LBB2_1231:
	s_trap 2
	s_sendmsg_rtn_b32 s0, sendmsg(MSG_RTN_GET_DOORBELL)
	s_mov_b32 ttmp2, m0
	s_waitcnt lgkmcnt(0)
	s_and_b32 s0, s0, 0x3ff
	s_delay_alu instid0(SALU_CYCLE_1) | instskip(NEXT) | instid1(SALU_CYCLE_1)
	s_bitset1_b32 s0, 10
	s_mov_b32 m0, s0
	s_sendmsg sendmsg(MSG_INTERRUPT)
	s_mov_b32 m0, ttmp2
.LBB2_1232:                             ; =>This Inner Loop Header: Depth=1
	s_sethalt 5
	s_branch .LBB2_1232
.LBB2_1233:
	s_trap 2
	s_sendmsg_rtn_b32 s0, sendmsg(MSG_RTN_GET_DOORBELL)
	s_mov_b32 ttmp2, m0
	s_waitcnt lgkmcnt(0)
	s_and_b32 s0, s0, 0x3ff
	s_delay_alu instid0(SALU_CYCLE_1) | instskip(NEXT) | instid1(SALU_CYCLE_1)
	s_bitset1_b32 s0, 10
	s_mov_b32 m0, s0
	s_sendmsg sendmsg(MSG_INTERRUPT)
	s_mov_b32 m0, ttmp2
.LBB2_1234:                             ; =>This Inner Loop Header: Depth=1
	s_sethalt 5
	s_branch .LBB2_1234
.LBB2_1235:
	s_trap 2
	s_sendmsg_rtn_b32 s0, sendmsg(MSG_RTN_GET_DOORBELL)
	s_mov_b32 ttmp2, m0
	s_waitcnt lgkmcnt(0)
	s_and_b32 s0, s0, 0x3ff
	s_delay_alu instid0(SALU_CYCLE_1) | instskip(NEXT) | instid1(SALU_CYCLE_1)
	s_bitset1_b32 s0, 10
	s_mov_b32 m0, s0
	s_sendmsg sendmsg(MSG_INTERRUPT)
	s_mov_b32 m0, ttmp2
.LBB2_1236:                             ; =>This Inner Loop Header: Depth=1
	s_sethalt 5
	s_branch .LBB2_1236
.LBB2_1237:
	s_trap 2
	s_sendmsg_rtn_b32 s0, sendmsg(MSG_RTN_GET_DOORBELL)
	s_mov_b32 ttmp2, m0
	s_waitcnt lgkmcnt(0)
	s_and_b32 s0, s0, 0x3ff
	s_delay_alu instid0(SALU_CYCLE_1) | instskip(NEXT) | instid1(SALU_CYCLE_1)
	s_bitset1_b32 s0, 10
	s_mov_b32 m0, s0
	s_sendmsg sendmsg(MSG_INTERRUPT)
	s_mov_b32 m0, ttmp2
.LBB2_1238:                             ; =>This Inner Loop Header: Depth=1
	s_sethalt 5
	s_branch .LBB2_1238
.LBB2_1239:
	s_trap 2
	s_sendmsg_rtn_b32 s0, sendmsg(MSG_RTN_GET_DOORBELL)
	s_mov_b32 ttmp2, m0
	s_waitcnt lgkmcnt(0)
	s_and_b32 s0, s0, 0x3ff
	s_delay_alu instid0(SALU_CYCLE_1) | instskip(NEXT) | instid1(SALU_CYCLE_1)
	s_bitset1_b32 s0, 10
	s_mov_b32 m0, s0
	s_sendmsg sendmsg(MSG_INTERRUPT)
	s_mov_b32 m0, ttmp2
.LBB2_1240:                             ; =>This Inner Loop Header: Depth=1
	s_sethalt 5
	s_branch .LBB2_1240
.LBB2_1241:
	s_trap 2
	s_sendmsg_rtn_b32 s0, sendmsg(MSG_RTN_GET_DOORBELL)
	s_mov_b32 ttmp2, m0
	s_waitcnt lgkmcnt(0)
	s_and_b32 s0, s0, 0x3ff
	s_delay_alu instid0(SALU_CYCLE_1) | instskip(NEXT) | instid1(SALU_CYCLE_1)
	s_bitset1_b32 s0, 10
	s_mov_b32 m0, s0
	s_sendmsg sendmsg(MSG_INTERRUPT)
	s_mov_b32 m0, ttmp2
.LBB2_1242:                             ; =>This Inner Loop Header: Depth=1
	s_sethalt 5
	s_branch .LBB2_1242
.LBB2_1243:
	s_trap 2
	s_sendmsg_rtn_b32 s0, sendmsg(MSG_RTN_GET_DOORBELL)
	s_mov_b32 ttmp2, m0
	s_waitcnt lgkmcnt(0)
	s_and_b32 s0, s0, 0x3ff
	s_delay_alu instid0(SALU_CYCLE_1) | instskip(NEXT) | instid1(SALU_CYCLE_1)
	s_bitset1_b32 s0, 10
	s_mov_b32 m0, s0
	s_sendmsg sendmsg(MSG_INTERRUPT)
	s_mov_b32 m0, ttmp2
.LBB2_1244:                             ; =>This Inner Loop Header: Depth=1
	s_sethalt 5
	s_branch .LBB2_1244
.LBB2_1245:
	s_trap 2
	s_sendmsg_rtn_b32 s0, sendmsg(MSG_RTN_GET_DOORBELL)
	s_mov_b32 ttmp2, m0
	s_waitcnt lgkmcnt(0)
	s_and_b32 s0, s0, 0x3ff
	s_delay_alu instid0(SALU_CYCLE_1) | instskip(NEXT) | instid1(SALU_CYCLE_1)
	s_bitset1_b32 s0, 10
	s_mov_b32 m0, s0
	s_sendmsg sendmsg(MSG_INTERRUPT)
	s_mov_b32 m0, ttmp2
.LBB2_1246:                             ; =>This Inner Loop Header: Depth=1
	s_sethalt 5
	s_branch .LBB2_1246
.LBB2_1247:
	s_trap 2
	s_sendmsg_rtn_b32 s0, sendmsg(MSG_RTN_GET_DOORBELL)
	s_mov_b32 ttmp2, m0
	s_waitcnt lgkmcnt(0)
	s_and_b32 s0, s0, 0x3ff
	s_delay_alu instid0(SALU_CYCLE_1) | instskip(NEXT) | instid1(SALU_CYCLE_1)
	s_bitset1_b32 s0, 10
	s_mov_b32 m0, s0
	s_sendmsg sendmsg(MSG_INTERRUPT)
	s_mov_b32 m0, ttmp2
.LBB2_1248:                             ; =>This Inner Loop Header: Depth=1
	s_sethalt 5
	s_branch .LBB2_1248
.LBB2_1249:
	s_trap 2
	s_sendmsg_rtn_b32 s0, sendmsg(MSG_RTN_GET_DOORBELL)
	s_mov_b32 ttmp2, m0
	s_waitcnt lgkmcnt(0)
	s_and_b32 s0, s0, 0x3ff
	s_delay_alu instid0(SALU_CYCLE_1) | instskip(NEXT) | instid1(SALU_CYCLE_1)
	s_bitset1_b32 s0, 10
	s_mov_b32 m0, s0
	s_sendmsg sendmsg(MSG_INTERRUPT)
	s_mov_b32 m0, ttmp2
.LBB2_1250:                             ; =>This Inner Loop Header: Depth=1
	s_sethalt 5
	s_branch .LBB2_1250
.LBB2_1251:
	s_trap 2
	s_sendmsg_rtn_b32 s0, sendmsg(MSG_RTN_GET_DOORBELL)
	s_mov_b32 ttmp2, m0
	s_waitcnt lgkmcnt(0)
	s_and_b32 s0, s0, 0x3ff
	s_delay_alu instid0(SALU_CYCLE_1) | instskip(NEXT) | instid1(SALU_CYCLE_1)
	s_bitset1_b32 s0, 10
	s_mov_b32 m0, s0
	s_sendmsg sendmsg(MSG_INTERRUPT)
	s_mov_b32 m0, ttmp2
.LBB2_1252:                             ; =>This Inner Loop Header: Depth=1
	s_sethalt 5
	s_branch .LBB2_1252
.LBB2_1253:                             ;   in Loop: Header=BB2_1254 Depth=1
	s_or_b32 exec_lo, exec_lo, s12
	s_delay_alu instid0(SALU_CYCLE_1) | instskip(NEXT) | instid1(SALU_CYCLE_1)
	s_and_b32 s10, exec_lo, s11
	s_or_b32 s4, s10, s4
	s_and_not1_b32 s5, s5, exec_lo
	s_and_b32 s10, s6, exec_lo
	s_delay_alu instid0(SALU_CYCLE_1)
	s_or_b32 s5, s5, s10
	s_and_not1_b32 exec_lo, exec_lo, s4
	s_cbranch_execz .LBB2_1364
.LBB2_1254:                             ; =>This Inner Loop Header: Depth=1
	s_add_i32 s7, s7, 1
                                        ; implicit-def: $sgpr11
	s_delay_alu instid0(SALU_CYCLE_1) | instskip(SKIP_1) | instid1(SALU_CYCLE_1)
	s_cmpk_lg_i32 s7, 0x2710
	s_cselect_b32 s10, -1, 0
	s_and_b32 vcc_lo, exec_lo, s10
	s_cbranch_vccz .LBB2_1258
.LBB2_1255:                             ;   in Loop: Header=BB2_1254 Depth=1
	s_and_not1_b32 s6, s6, exec_lo
	s_and_b32 s12, s11, exec_lo
	s_mov_b32 s11, -1
	s_or_b32 s6, s6, s12
	s_and_saveexec_b32 s12, s10
	s_cbranch_execz .LBB2_1253
; %bb.1256:                             ;   in Loop: Header=BB2_1254 Depth=1
	s_sleep 1
	s_cbranch_execnz .LBB2_1280
; %bb.1257:                             ;   in Loop: Header=BB2_1254 Depth=1
	ds_load_b64 v[2:3], v0
	s_and_not1_b32 s6, s6, exec_lo
	s_waitcnt lgkmcnt(0)
	v_cmp_ge_u64_e32 vcc_lo, v[2:3], v[0:1]
	s_or_not1_b32 s11, vcc_lo, exec_lo
	s_branch .LBB2_1253
.LBB2_1258:                             ;   in Loop: Header=BB2_1254 Depth=1
	s_cbranch_execnz .LBB2_1288
; %bb.1259:                             ;   in Loop: Header=BB2_1254 Depth=1
	ds_load_b64 v[2:3], v0
	s_and_not1_b32 s10, s10, exec_lo
	s_mov_b32 s7, 0
	s_mov_b32 s11, -1
	s_waitcnt lgkmcnt(0)
	flat_load_b32 v2, v[2:3] glc
	s_waitcnt vmcnt(0) lgkmcnt(0)
	buffer_gl1_inv
	buffer_gl0_inv
	v_cmp_eq_u32_e32 vcc_lo, 0, v2
	s_and_b32 s12, vcc_lo, exec_lo
	s_delay_alu instid0(SALU_CYCLE_1)
	s_or_b32 s10, s10, s12
	s_branch .LBB2_1255
.LBB2_1260:
	s_trap 2
	s_sendmsg_rtn_b32 s0, sendmsg(MSG_RTN_GET_DOORBELL)
	s_mov_b32 ttmp2, m0
	s_waitcnt lgkmcnt(0)
	s_and_b32 s0, s0, 0x3ff
	s_delay_alu instid0(SALU_CYCLE_1) | instskip(NEXT) | instid1(SALU_CYCLE_1)
	s_bitset1_b32 s0, 10
	s_mov_b32 m0, s0
	s_sendmsg sendmsg(MSG_INTERRUPT)
	s_mov_b32 m0, ttmp2
.LBB2_1261:                             ; =>This Inner Loop Header: Depth=1
	s_sethalt 5
	s_branch .LBB2_1261
.LBB2_1262:
	s_trap 2
	s_sendmsg_rtn_b32 s0, sendmsg(MSG_RTN_GET_DOORBELL)
	s_mov_b32 ttmp2, m0
	s_waitcnt lgkmcnt(0)
	s_and_b32 s0, s0, 0x3ff
	s_delay_alu instid0(SALU_CYCLE_1) | instskip(NEXT) | instid1(SALU_CYCLE_1)
	s_bitset1_b32 s0, 10
	s_mov_b32 m0, s0
	s_sendmsg sendmsg(MSG_INTERRUPT)
	s_mov_b32 m0, ttmp2
.LBB2_1263:                             ; =>This Inner Loop Header: Depth=1
	s_sethalt 5
	s_branch .LBB2_1263
.LBB2_1264:
	s_trap 2
	s_sendmsg_rtn_b32 s0, sendmsg(MSG_RTN_GET_DOORBELL)
	s_mov_b32 ttmp2, m0
	s_waitcnt lgkmcnt(0)
	s_and_b32 s0, s0, 0x3ff
	s_delay_alu instid0(SALU_CYCLE_1) | instskip(NEXT) | instid1(SALU_CYCLE_1)
	s_bitset1_b32 s0, 10
	s_mov_b32 m0, s0
	s_sendmsg sendmsg(MSG_INTERRUPT)
	s_mov_b32 m0, ttmp2
.LBB2_1265:                             ; =>This Inner Loop Header: Depth=1
	s_sethalt 5
	s_branch .LBB2_1265
.LBB2_1266:
	s_trap 2
	s_sendmsg_rtn_b32 s0, sendmsg(MSG_RTN_GET_DOORBELL)
	s_mov_b32 ttmp2, m0
	s_waitcnt lgkmcnt(0)
	s_and_b32 s0, s0, 0x3ff
	s_delay_alu instid0(SALU_CYCLE_1) | instskip(NEXT) | instid1(SALU_CYCLE_1)
	s_bitset1_b32 s0, 10
	s_mov_b32 m0, s0
	s_sendmsg sendmsg(MSG_INTERRUPT)
	s_mov_b32 m0, ttmp2
.LBB2_1267:                             ; =>This Inner Loop Header: Depth=1
	s_sethalt 5
	s_branch .LBB2_1267
.LBB2_1268:
	s_trap 2
	s_sendmsg_rtn_b32 s0, sendmsg(MSG_RTN_GET_DOORBELL)
	s_mov_b32 ttmp2, m0
	s_waitcnt lgkmcnt(0)
	s_and_b32 s0, s0, 0x3ff
	s_delay_alu instid0(SALU_CYCLE_1) | instskip(NEXT) | instid1(SALU_CYCLE_1)
	s_bitset1_b32 s0, 10
	s_mov_b32 m0, s0
	s_sendmsg sendmsg(MSG_INTERRUPT)
	s_mov_b32 m0, ttmp2
.LBB2_1269:                             ; =>This Inner Loop Header: Depth=1
	s_sethalt 5
	s_branch .LBB2_1269
.LBB2_1270:
	s_trap 2
	s_sendmsg_rtn_b32 s0, sendmsg(MSG_RTN_GET_DOORBELL)
	s_mov_b32 ttmp2, m0
	s_waitcnt lgkmcnt(0)
	s_and_b32 s0, s0, 0x3ff
	s_delay_alu instid0(SALU_CYCLE_1) | instskip(NEXT) | instid1(SALU_CYCLE_1)
	s_bitset1_b32 s0, 10
	s_mov_b32 m0, s0
	s_sendmsg sendmsg(MSG_INTERRUPT)
	s_mov_b32 m0, ttmp2
.LBB2_1271:                             ; =>This Inner Loop Header: Depth=1
	s_sethalt 5
	s_branch .LBB2_1271
.LBB2_1272:
	s_trap 2
	s_sendmsg_rtn_b32 s0, sendmsg(MSG_RTN_GET_DOORBELL)
	s_mov_b32 ttmp2, m0
	s_waitcnt lgkmcnt(0)
	s_and_b32 s0, s0, 0x3ff
	s_delay_alu instid0(SALU_CYCLE_1) | instskip(NEXT) | instid1(SALU_CYCLE_1)
	s_bitset1_b32 s0, 10
	s_mov_b32 m0, s0
	s_sendmsg sendmsg(MSG_INTERRUPT)
	s_mov_b32 m0, ttmp2
.LBB2_1273:                             ; =>This Inner Loop Header: Depth=1
	s_sethalt 5
	s_branch .LBB2_1273
.LBB2_1274:
	s_trap 2
	s_sendmsg_rtn_b32 s0, sendmsg(MSG_RTN_GET_DOORBELL)
	s_mov_b32 ttmp2, m0
	s_waitcnt lgkmcnt(0)
	s_and_b32 s0, s0, 0x3ff
	s_delay_alu instid0(SALU_CYCLE_1) | instskip(NEXT) | instid1(SALU_CYCLE_1)
	s_bitset1_b32 s0, 10
	s_mov_b32 m0, s0
	s_sendmsg sendmsg(MSG_INTERRUPT)
	s_mov_b32 m0, ttmp2
.LBB2_1275:                             ; =>This Inner Loop Header: Depth=1
	s_sethalt 5
	s_branch .LBB2_1275
.LBB2_1276:
	s_trap 2
	s_sendmsg_rtn_b32 s0, sendmsg(MSG_RTN_GET_DOORBELL)
	s_mov_b32 ttmp2, m0
	s_waitcnt lgkmcnt(0)
	s_and_b32 s0, s0, 0x3ff
	s_delay_alu instid0(SALU_CYCLE_1) | instskip(NEXT) | instid1(SALU_CYCLE_1)
	s_bitset1_b32 s0, 10
	s_mov_b32 m0, s0
	s_sendmsg sendmsg(MSG_INTERRUPT)
	s_mov_b32 m0, ttmp2
.LBB2_1277:                             ; =>This Inner Loop Header: Depth=1
	s_sethalt 5
	s_branch .LBB2_1277
.LBB2_1278:
	s_trap 2
	s_sendmsg_rtn_b32 s0, sendmsg(MSG_RTN_GET_DOORBELL)
	s_mov_b32 ttmp2, m0
	s_waitcnt lgkmcnt(0)
	s_and_b32 s0, s0, 0x3ff
	s_delay_alu instid0(SALU_CYCLE_1) | instskip(NEXT) | instid1(SALU_CYCLE_1)
	s_bitset1_b32 s0, 10
	s_mov_b32 m0, s0
	s_sendmsg sendmsg(MSG_INTERRUPT)
	s_mov_b32 m0, ttmp2
.LBB2_1279:                             ; =>This Inner Loop Header: Depth=1
	s_sethalt 5
	s_branch .LBB2_1279
.LBB2_1280:
	s_trap 2
	s_sendmsg_rtn_b32 s0, sendmsg(MSG_RTN_GET_DOORBELL)
	s_mov_b32 ttmp2, m0
	s_waitcnt lgkmcnt(0)
	s_and_b32 s0, s0, 0x3ff
	s_delay_alu instid0(SALU_CYCLE_1) | instskip(NEXT) | instid1(SALU_CYCLE_1)
	s_bitset1_b32 s0, 10
	s_mov_b32 m0, s0
	s_sendmsg sendmsg(MSG_INTERRUPT)
	s_mov_b32 m0, ttmp2
.LBB2_1281:                             ; =>This Inner Loop Header: Depth=1
	s_sethalt 5
	s_branch .LBB2_1281
.LBB2_1282:
	s_trap 2
	s_sendmsg_rtn_b32 s0, sendmsg(MSG_RTN_GET_DOORBELL)
	s_mov_b32 ttmp2, m0
	s_waitcnt lgkmcnt(0)
	s_and_b32 s0, s0, 0x3ff
	s_delay_alu instid0(SALU_CYCLE_1) | instskip(NEXT) | instid1(SALU_CYCLE_1)
	s_bitset1_b32 s0, 10
	s_mov_b32 m0, s0
	s_sendmsg sendmsg(MSG_INTERRUPT)
	s_mov_b32 m0, ttmp2
.LBB2_1283:                             ; =>This Inner Loop Header: Depth=1
	s_sethalt 5
	s_branch .LBB2_1283
.LBB2_1284:
	s_trap 2
	s_sendmsg_rtn_b32 s0, sendmsg(MSG_RTN_GET_DOORBELL)
	s_mov_b32 ttmp2, m0
	s_waitcnt lgkmcnt(0)
	s_and_b32 s0, s0, 0x3ff
	s_delay_alu instid0(SALU_CYCLE_1) | instskip(NEXT) | instid1(SALU_CYCLE_1)
	s_bitset1_b32 s0, 10
	s_mov_b32 m0, s0
	s_sendmsg sendmsg(MSG_INTERRUPT)
	s_mov_b32 m0, ttmp2
.LBB2_1285:                             ; =>This Inner Loop Header: Depth=1
	s_sethalt 5
	s_branch .LBB2_1285
.LBB2_1286:
	s_trap 2
	s_sendmsg_rtn_b32 s0, sendmsg(MSG_RTN_GET_DOORBELL)
	s_mov_b32 ttmp2, m0
	s_waitcnt lgkmcnt(0)
	s_and_b32 s0, s0, 0x3ff
	s_delay_alu instid0(SALU_CYCLE_1) | instskip(NEXT) | instid1(SALU_CYCLE_1)
	s_bitset1_b32 s0, 10
	s_mov_b32 m0, s0
	s_sendmsg sendmsg(MSG_INTERRUPT)
	s_mov_b32 m0, ttmp2
.LBB2_1287:                             ; =>This Inner Loop Header: Depth=1
	s_sethalt 5
	s_branch .LBB2_1287
.LBB2_1288:
	s_trap 2
	s_sendmsg_rtn_b32 s0, sendmsg(MSG_RTN_GET_DOORBELL)
	s_mov_b32 ttmp2, m0
	s_waitcnt lgkmcnt(0)
	s_and_b32 s0, s0, 0x3ff
	s_delay_alu instid0(SALU_CYCLE_1) | instskip(NEXT) | instid1(SALU_CYCLE_1)
	s_bitset1_b32 s0, 10
	s_mov_b32 m0, s0
	s_sendmsg sendmsg(MSG_INTERRUPT)
	s_mov_b32 m0, ttmp2
.LBB2_1289:                             ; =>This Inner Loop Header: Depth=1
	s_sethalt 5
	s_branch .LBB2_1289
.LBB2_1290:
	s_trap 2
	s_sendmsg_rtn_b32 s0, sendmsg(MSG_RTN_GET_DOORBELL)
	s_mov_b32 ttmp2, m0
	s_waitcnt lgkmcnt(0)
	s_and_b32 s0, s0, 0x3ff
	s_delay_alu instid0(SALU_CYCLE_1) | instskip(NEXT) | instid1(SALU_CYCLE_1)
	s_bitset1_b32 s0, 10
	s_mov_b32 m0, s0
	s_sendmsg sendmsg(MSG_INTERRUPT)
	s_mov_b32 m0, ttmp2
.LBB2_1291:                             ; =>This Inner Loop Header: Depth=1
	s_sethalt 5
	s_branch .LBB2_1291
.LBB2_1292:
	s_trap 2
	s_sendmsg_rtn_b32 s0, sendmsg(MSG_RTN_GET_DOORBELL)
	s_mov_b32 ttmp2, m0
	s_waitcnt lgkmcnt(0)
	s_and_b32 s0, s0, 0x3ff
	s_delay_alu instid0(SALU_CYCLE_1) | instskip(NEXT) | instid1(SALU_CYCLE_1)
	s_bitset1_b32 s0, 10
	s_mov_b32 m0, s0
	s_sendmsg sendmsg(MSG_INTERRUPT)
	s_mov_b32 m0, ttmp2
.LBB2_1293:                             ; =>This Inner Loop Header: Depth=1
	s_sethalt 5
	s_branch .LBB2_1293
.LBB2_1294:
	s_trap 2
	s_sendmsg_rtn_b32 s0, sendmsg(MSG_RTN_GET_DOORBELL)
	s_mov_b32 ttmp2, m0
	s_waitcnt lgkmcnt(0)
	s_and_b32 s0, s0, 0x3ff
	s_delay_alu instid0(SALU_CYCLE_1) | instskip(NEXT) | instid1(SALU_CYCLE_1)
	s_bitset1_b32 s0, 10
	s_mov_b32 m0, s0
	s_sendmsg sendmsg(MSG_INTERRUPT)
	s_mov_b32 m0, ttmp2
.LBB2_1295:                             ; =>This Inner Loop Header: Depth=1
	s_sethalt 5
	s_branch .LBB2_1295
.LBB2_1296:
	s_trap 2
	s_sendmsg_rtn_b32 s0, sendmsg(MSG_RTN_GET_DOORBELL)
	s_mov_b32 ttmp2, m0
	s_waitcnt lgkmcnt(0)
	s_and_b32 s0, s0, 0x3ff
	s_delay_alu instid0(SALU_CYCLE_1) | instskip(NEXT) | instid1(SALU_CYCLE_1)
	s_bitset1_b32 s0, 10
	s_mov_b32 m0, s0
	s_sendmsg sendmsg(MSG_INTERRUPT)
	s_mov_b32 m0, ttmp2
.LBB2_1297:                             ; =>This Inner Loop Header: Depth=1
	s_sethalt 5
	s_branch .LBB2_1297
.LBB2_1298:
	s_trap 2
	s_sendmsg_rtn_b32 s0, sendmsg(MSG_RTN_GET_DOORBELL)
	s_mov_b32 ttmp2, m0
	s_waitcnt lgkmcnt(0)
	s_and_b32 s0, s0, 0x3ff
	s_delay_alu instid0(SALU_CYCLE_1) | instskip(NEXT) | instid1(SALU_CYCLE_1)
	s_bitset1_b32 s0, 10
	s_mov_b32 m0, s0
	s_sendmsg sendmsg(MSG_INTERRUPT)
	s_mov_b32 m0, ttmp2
.LBB2_1299:                             ; =>This Inner Loop Header: Depth=1
	s_sethalt 5
	s_branch .LBB2_1299
.LBB2_1300:
	s_trap 2
	s_sendmsg_rtn_b32 s0, sendmsg(MSG_RTN_GET_DOORBELL)
	s_mov_b32 ttmp2, m0
	s_waitcnt lgkmcnt(0)
	s_and_b32 s0, s0, 0x3ff
	s_delay_alu instid0(SALU_CYCLE_1) | instskip(NEXT) | instid1(SALU_CYCLE_1)
	s_bitset1_b32 s0, 10
	s_mov_b32 m0, s0
	s_sendmsg sendmsg(MSG_INTERRUPT)
	s_mov_b32 m0, ttmp2
.LBB2_1301:                             ; =>This Inner Loop Header: Depth=1
	s_sethalt 5
	s_branch .LBB2_1301
.LBB2_1302:
	s_trap 2
	s_sendmsg_rtn_b32 s0, sendmsg(MSG_RTN_GET_DOORBELL)
	s_mov_b32 ttmp2, m0
	s_waitcnt lgkmcnt(0)
	s_and_b32 s0, s0, 0x3ff
	s_delay_alu instid0(SALU_CYCLE_1) | instskip(NEXT) | instid1(SALU_CYCLE_1)
	s_bitset1_b32 s0, 10
	s_mov_b32 m0, s0
	s_sendmsg sendmsg(MSG_INTERRUPT)
	s_mov_b32 m0, ttmp2
.LBB2_1303:                             ; =>This Inner Loop Header: Depth=1
	s_sethalt 5
	s_branch .LBB2_1303
.LBB2_1304:
	s_trap 2
	s_sendmsg_rtn_b32 s0, sendmsg(MSG_RTN_GET_DOORBELL)
	s_mov_b32 ttmp2, m0
	s_waitcnt lgkmcnt(0)
	s_and_b32 s0, s0, 0x3ff
	s_delay_alu instid0(SALU_CYCLE_1) | instskip(NEXT) | instid1(SALU_CYCLE_1)
	s_bitset1_b32 s0, 10
	s_mov_b32 m0, s0
	s_sendmsg sendmsg(MSG_INTERRUPT)
	s_mov_b32 m0, ttmp2
.LBB2_1305:                             ; =>This Inner Loop Header: Depth=1
	s_sethalt 5
	s_branch .LBB2_1305
.LBB2_1306:
	s_trap 2
	s_sendmsg_rtn_b32 s0, sendmsg(MSG_RTN_GET_DOORBELL)
	s_mov_b32 ttmp2, m0
	s_waitcnt lgkmcnt(0)
	s_and_b32 s0, s0, 0x3ff
	s_delay_alu instid0(SALU_CYCLE_1) | instskip(NEXT) | instid1(SALU_CYCLE_1)
	s_bitset1_b32 s0, 10
	s_mov_b32 m0, s0
	s_sendmsg sendmsg(MSG_INTERRUPT)
	s_mov_b32 m0, ttmp2
.LBB2_1307:                             ; =>This Inner Loop Header: Depth=1
	s_sethalt 5
	s_branch .LBB2_1307
.LBB2_1308:
	s_trap 2
	s_sendmsg_rtn_b32 s0, sendmsg(MSG_RTN_GET_DOORBELL)
	s_mov_b32 ttmp2, m0
	s_waitcnt lgkmcnt(0)
	s_and_b32 s0, s0, 0x3ff
	s_delay_alu instid0(SALU_CYCLE_1) | instskip(NEXT) | instid1(SALU_CYCLE_1)
	s_bitset1_b32 s0, 10
	s_mov_b32 m0, s0
	s_sendmsg sendmsg(MSG_INTERRUPT)
	s_mov_b32 m0, ttmp2
.LBB2_1309:                             ; =>This Inner Loop Header: Depth=1
	s_sethalt 5
	s_branch .LBB2_1309
.LBB2_1310:
	s_trap 2
	s_sendmsg_rtn_b32 s0, sendmsg(MSG_RTN_GET_DOORBELL)
	s_mov_b32 ttmp2, m0
	s_waitcnt lgkmcnt(0)
	s_and_b32 s0, s0, 0x3ff
	s_delay_alu instid0(SALU_CYCLE_1) | instskip(NEXT) | instid1(SALU_CYCLE_1)
	s_bitset1_b32 s0, 10
	s_mov_b32 m0, s0
	s_sendmsg sendmsg(MSG_INTERRUPT)
	s_mov_b32 m0, ttmp2
.LBB2_1311:                             ; =>This Inner Loop Header: Depth=1
	s_sethalt 5
	s_branch .LBB2_1311
.LBB2_1312:
	s_trap 2
	s_sendmsg_rtn_b32 s0, sendmsg(MSG_RTN_GET_DOORBELL)
	s_mov_b32 ttmp2, m0
	s_waitcnt lgkmcnt(0)
	s_and_b32 s0, s0, 0x3ff
	s_delay_alu instid0(SALU_CYCLE_1) | instskip(NEXT) | instid1(SALU_CYCLE_1)
	s_bitset1_b32 s0, 10
	s_mov_b32 m0, s0
	s_sendmsg sendmsg(MSG_INTERRUPT)
	s_mov_b32 m0, ttmp2
.LBB2_1313:                             ; =>This Inner Loop Header: Depth=1
	s_sethalt 5
	s_branch .LBB2_1313
.LBB2_1314:
	s_trap 2
	s_sendmsg_rtn_b32 s0, sendmsg(MSG_RTN_GET_DOORBELL)
	s_mov_b32 ttmp2, m0
	s_waitcnt lgkmcnt(0)
	s_and_b32 s0, s0, 0x3ff
	s_delay_alu instid0(SALU_CYCLE_1) | instskip(NEXT) | instid1(SALU_CYCLE_1)
	s_bitset1_b32 s0, 10
	s_mov_b32 m0, s0
	s_sendmsg sendmsg(MSG_INTERRUPT)
	s_mov_b32 m0, ttmp2
.LBB2_1315:                             ; =>This Inner Loop Header: Depth=1
	s_sethalt 5
	s_branch .LBB2_1315
.LBB2_1316:
	s_trap 2
	s_sendmsg_rtn_b32 s0, sendmsg(MSG_RTN_GET_DOORBELL)
	s_mov_b32 ttmp2, m0
	s_waitcnt lgkmcnt(0)
	s_and_b32 s0, s0, 0x3ff
	s_delay_alu instid0(SALU_CYCLE_1) | instskip(NEXT) | instid1(SALU_CYCLE_1)
	s_bitset1_b32 s0, 10
	s_mov_b32 m0, s0
	s_sendmsg sendmsg(MSG_INTERRUPT)
	s_mov_b32 m0, ttmp2
.LBB2_1317:                             ; =>This Inner Loop Header: Depth=1
	s_sethalt 5
	s_branch .LBB2_1317
.LBB2_1318:
	s_trap 2
	s_sendmsg_rtn_b32 s0, sendmsg(MSG_RTN_GET_DOORBELL)
	s_mov_b32 ttmp2, m0
	s_waitcnt lgkmcnt(0)
	s_and_b32 s0, s0, 0x3ff
	s_delay_alu instid0(SALU_CYCLE_1) | instskip(NEXT) | instid1(SALU_CYCLE_1)
	s_bitset1_b32 s0, 10
	s_mov_b32 m0, s0
	s_sendmsg sendmsg(MSG_INTERRUPT)
	s_mov_b32 m0, ttmp2
.LBB2_1319:                             ; =>This Inner Loop Header: Depth=1
	s_sethalt 5
	s_branch .LBB2_1319
.LBB2_1320:
	s_trap 2
	s_sendmsg_rtn_b32 s0, sendmsg(MSG_RTN_GET_DOORBELL)
	s_mov_b32 ttmp2, m0
	s_waitcnt lgkmcnt(0)
	s_and_b32 s0, s0, 0x3ff
	s_delay_alu instid0(SALU_CYCLE_1) | instskip(NEXT) | instid1(SALU_CYCLE_1)
	s_bitset1_b32 s0, 10
	s_mov_b32 m0, s0
	s_sendmsg sendmsg(MSG_INTERRUPT)
	s_mov_b32 m0, ttmp2
.LBB2_1321:                             ; =>This Inner Loop Header: Depth=1
	s_sethalt 5
	s_branch .LBB2_1321
.LBB2_1322:
	s_trap 2
	s_sendmsg_rtn_b32 s0, sendmsg(MSG_RTN_GET_DOORBELL)
	s_mov_b32 ttmp2, m0
	s_waitcnt lgkmcnt(0)
	s_and_b32 s0, s0, 0x3ff
	s_delay_alu instid0(SALU_CYCLE_1) | instskip(NEXT) | instid1(SALU_CYCLE_1)
	s_bitset1_b32 s0, 10
	s_mov_b32 m0, s0
	s_sendmsg sendmsg(MSG_INTERRUPT)
	s_mov_b32 m0, ttmp2
.LBB2_1323:                             ; =>This Inner Loop Header: Depth=1
	s_sethalt 5
	s_branch .LBB2_1323
.LBB2_1324:
	s_trap 2
	s_sendmsg_rtn_b32 s0, sendmsg(MSG_RTN_GET_DOORBELL)
	s_mov_b32 ttmp2, m0
	s_waitcnt lgkmcnt(0)
	s_and_b32 s0, s0, 0x3ff
	s_delay_alu instid0(SALU_CYCLE_1) | instskip(NEXT) | instid1(SALU_CYCLE_1)
	s_bitset1_b32 s0, 10
	s_mov_b32 m0, s0
	s_sendmsg sendmsg(MSG_INTERRUPT)
	s_mov_b32 m0, ttmp2
.LBB2_1325:                             ; =>This Inner Loop Header: Depth=1
	s_sethalt 5
	s_branch .LBB2_1325
.LBB2_1326:
	s_trap 2
	s_sendmsg_rtn_b32 s0, sendmsg(MSG_RTN_GET_DOORBELL)
	s_mov_b32 ttmp2, m0
	s_waitcnt lgkmcnt(0)
	s_and_b32 s0, s0, 0x3ff
	s_delay_alu instid0(SALU_CYCLE_1) | instskip(NEXT) | instid1(SALU_CYCLE_1)
	s_bitset1_b32 s0, 10
	s_mov_b32 m0, s0
	s_sendmsg sendmsg(MSG_INTERRUPT)
	s_mov_b32 m0, ttmp2
.LBB2_1327:                             ; =>This Inner Loop Header: Depth=1
	s_sethalt 5
	s_branch .LBB2_1327
.LBB2_1328:
	s_trap 2
	s_sendmsg_rtn_b32 s0, sendmsg(MSG_RTN_GET_DOORBELL)
	s_mov_b32 ttmp2, m0
	s_waitcnt lgkmcnt(0)
	s_and_b32 s0, s0, 0x3ff
	s_delay_alu instid0(SALU_CYCLE_1) | instskip(NEXT) | instid1(SALU_CYCLE_1)
	s_bitset1_b32 s0, 10
	s_mov_b32 m0, s0
	s_sendmsg sendmsg(MSG_INTERRUPT)
	s_mov_b32 m0, ttmp2
.LBB2_1329:                             ; =>This Inner Loop Header: Depth=1
	s_sethalt 5
	s_branch .LBB2_1329
.LBB2_1330:
	s_trap 2
	s_sendmsg_rtn_b32 s0, sendmsg(MSG_RTN_GET_DOORBELL)
	s_mov_b32 ttmp2, m0
	s_waitcnt lgkmcnt(0)
	s_and_b32 s0, s0, 0x3ff
	s_delay_alu instid0(SALU_CYCLE_1) | instskip(NEXT) | instid1(SALU_CYCLE_1)
	s_bitset1_b32 s0, 10
	s_mov_b32 m0, s0
	s_sendmsg sendmsg(MSG_INTERRUPT)
	s_mov_b32 m0, ttmp2
.LBB2_1331:                             ; =>This Inner Loop Header: Depth=1
	s_sethalt 5
	s_branch .LBB2_1331
.LBB2_1332:
	s_trap 2
	s_sendmsg_rtn_b32 s0, sendmsg(MSG_RTN_GET_DOORBELL)
	s_mov_b32 ttmp2, m0
	s_waitcnt lgkmcnt(0)
	s_and_b32 s0, s0, 0x3ff
	s_delay_alu instid0(SALU_CYCLE_1) | instskip(NEXT) | instid1(SALU_CYCLE_1)
	s_bitset1_b32 s0, 10
	s_mov_b32 m0, s0
	s_sendmsg sendmsg(MSG_INTERRUPT)
	s_mov_b32 m0, ttmp2
.LBB2_1333:                             ; =>This Inner Loop Header: Depth=1
	s_sethalt 5
	s_branch .LBB2_1333
.LBB2_1334:
	s_trap 2
	s_sendmsg_rtn_b32 s0, sendmsg(MSG_RTN_GET_DOORBELL)
	s_mov_b32 ttmp2, m0
	s_waitcnt lgkmcnt(0)
	s_and_b32 s0, s0, 0x3ff
	s_delay_alu instid0(SALU_CYCLE_1) | instskip(NEXT) | instid1(SALU_CYCLE_1)
	s_bitset1_b32 s0, 10
	s_mov_b32 m0, s0
	s_sendmsg sendmsg(MSG_INTERRUPT)
	s_mov_b32 m0, ttmp2
.LBB2_1335:                             ; =>This Inner Loop Header: Depth=1
	s_sethalt 5
	s_branch .LBB2_1335
.LBB2_1336:
	s_trap 2
	s_sendmsg_rtn_b32 s0, sendmsg(MSG_RTN_GET_DOORBELL)
	s_mov_b32 ttmp2, m0
	s_waitcnt lgkmcnt(0)
	s_and_b32 s0, s0, 0x3ff
	s_delay_alu instid0(SALU_CYCLE_1) | instskip(NEXT) | instid1(SALU_CYCLE_1)
	s_bitset1_b32 s0, 10
	s_mov_b32 m0, s0
	s_sendmsg sendmsg(MSG_INTERRUPT)
	s_mov_b32 m0, ttmp2
.LBB2_1337:                             ; =>This Inner Loop Header: Depth=1
	s_sethalt 5
	s_branch .LBB2_1337
.LBB2_1338:
	s_trap 2
	s_sendmsg_rtn_b32 s0, sendmsg(MSG_RTN_GET_DOORBELL)
	s_mov_b32 ttmp2, m0
	s_waitcnt lgkmcnt(0)
	s_and_b32 s0, s0, 0x3ff
	s_delay_alu instid0(SALU_CYCLE_1) | instskip(NEXT) | instid1(SALU_CYCLE_1)
	s_bitset1_b32 s0, 10
	s_mov_b32 m0, s0
	s_sendmsg sendmsg(MSG_INTERRUPT)
	s_mov_b32 m0, ttmp2
.LBB2_1339:                             ; =>This Inner Loop Header: Depth=1
	s_sethalt 5
	s_branch .LBB2_1339
.LBB2_1340:
	s_trap 2
	s_sendmsg_rtn_b32 s0, sendmsg(MSG_RTN_GET_DOORBELL)
	s_mov_b32 ttmp2, m0
	s_waitcnt lgkmcnt(0)
	s_and_b32 s0, s0, 0x3ff
	s_delay_alu instid0(SALU_CYCLE_1) | instskip(NEXT) | instid1(SALU_CYCLE_1)
	s_bitset1_b32 s0, 10
	s_mov_b32 m0, s0
	s_sendmsg sendmsg(MSG_INTERRUPT)
	s_mov_b32 m0, ttmp2
.LBB2_1341:                             ; =>This Inner Loop Header: Depth=1
	s_sethalt 5
	s_branch .LBB2_1341
.LBB2_1342:
	s_trap 2
	s_sendmsg_rtn_b32 s0, sendmsg(MSG_RTN_GET_DOORBELL)
	s_mov_b32 ttmp2, m0
	s_waitcnt lgkmcnt(0)
	s_and_b32 s0, s0, 0x3ff
	s_delay_alu instid0(SALU_CYCLE_1) | instskip(NEXT) | instid1(SALU_CYCLE_1)
	s_bitset1_b32 s0, 10
	s_mov_b32 m0, s0
	s_sendmsg sendmsg(MSG_INTERRUPT)
	s_mov_b32 m0, ttmp2
.LBB2_1343:                             ; =>This Inner Loop Header: Depth=1
	s_sethalt 5
	s_branch .LBB2_1343
.LBB2_1344:
	s_trap 2
	s_sendmsg_rtn_b32 s0, sendmsg(MSG_RTN_GET_DOORBELL)
	s_mov_b32 ttmp2, m0
	s_waitcnt lgkmcnt(0)
	s_and_b32 s0, s0, 0x3ff
	s_delay_alu instid0(SALU_CYCLE_1) | instskip(NEXT) | instid1(SALU_CYCLE_1)
	s_bitset1_b32 s0, 10
	s_mov_b32 m0, s0
	s_sendmsg sendmsg(MSG_INTERRUPT)
	s_mov_b32 m0, ttmp2
.LBB2_1345:                             ; =>This Inner Loop Header: Depth=1
	s_sethalt 5
	s_branch .LBB2_1345
.LBB2_1346:
	s_trap 2
	s_sendmsg_rtn_b32 s0, sendmsg(MSG_RTN_GET_DOORBELL)
	s_mov_b32 ttmp2, m0
	s_waitcnt lgkmcnt(0)
	s_and_b32 s0, s0, 0x3ff
	s_delay_alu instid0(SALU_CYCLE_1) | instskip(NEXT) | instid1(SALU_CYCLE_1)
	s_bitset1_b32 s0, 10
	s_mov_b32 m0, s0
	s_sendmsg sendmsg(MSG_INTERRUPT)
	s_mov_b32 m0, ttmp2
.LBB2_1347:                             ; =>This Inner Loop Header: Depth=1
	s_sethalt 5
	s_branch .LBB2_1347
.LBB2_1348:
	s_trap 2
	s_sendmsg_rtn_b32 s0, sendmsg(MSG_RTN_GET_DOORBELL)
	s_mov_b32 ttmp2, m0
	s_waitcnt lgkmcnt(0)
	s_and_b32 s0, s0, 0x3ff
	s_delay_alu instid0(SALU_CYCLE_1) | instskip(NEXT) | instid1(SALU_CYCLE_1)
	s_bitset1_b32 s0, 10
	s_mov_b32 m0, s0
	s_sendmsg sendmsg(MSG_INTERRUPT)
	s_mov_b32 m0, ttmp2
.LBB2_1349:                             ; =>This Inner Loop Header: Depth=1
	s_sethalt 5
	s_branch .LBB2_1349
.LBB2_1350:
	s_trap 2
	s_sendmsg_rtn_b32 s0, sendmsg(MSG_RTN_GET_DOORBELL)
	s_mov_b32 ttmp2, m0
	s_waitcnt lgkmcnt(0)
	s_and_b32 s0, s0, 0x3ff
	s_delay_alu instid0(SALU_CYCLE_1) | instskip(NEXT) | instid1(SALU_CYCLE_1)
	s_bitset1_b32 s0, 10
	s_mov_b32 m0, s0
	s_sendmsg sendmsg(MSG_INTERRUPT)
	s_mov_b32 m0, ttmp2
.LBB2_1351:                             ; =>This Inner Loop Header: Depth=1
	s_sethalt 5
	s_branch .LBB2_1351
.LBB2_1352:
	s_trap 2
	s_sendmsg_rtn_b32 s0, sendmsg(MSG_RTN_GET_DOORBELL)
	s_mov_b32 ttmp2, m0
	s_waitcnt lgkmcnt(0)
	s_and_b32 s0, s0, 0x3ff
	s_delay_alu instid0(SALU_CYCLE_1) | instskip(NEXT) | instid1(SALU_CYCLE_1)
	s_bitset1_b32 s0, 10
	s_mov_b32 m0, s0
	s_sendmsg sendmsg(MSG_INTERRUPT)
	s_mov_b32 m0, ttmp2
.LBB2_1353:                             ; =>This Inner Loop Header: Depth=1
	s_sethalt 5
	s_branch .LBB2_1353
.LBB2_1354:
	s_trap 2
	s_sendmsg_rtn_b32 s0, sendmsg(MSG_RTN_GET_DOORBELL)
	s_mov_b32 ttmp2, m0
	s_waitcnt lgkmcnt(0)
	s_and_b32 s0, s0, 0x3ff
	s_delay_alu instid0(SALU_CYCLE_1) | instskip(NEXT) | instid1(SALU_CYCLE_1)
	s_bitset1_b32 s0, 10
	s_mov_b32 m0, s0
	s_sendmsg sendmsg(MSG_INTERRUPT)
	s_mov_b32 m0, ttmp2
.LBB2_1355:                             ; =>This Inner Loop Header: Depth=1
	s_sethalt 5
	s_branch .LBB2_1355
.LBB2_1356:
	s_trap 2
	s_sendmsg_rtn_b32 s0, sendmsg(MSG_RTN_GET_DOORBELL)
	s_mov_b32 ttmp2, m0
	s_waitcnt lgkmcnt(0)
	s_and_b32 s0, s0, 0x3ff
	s_delay_alu instid0(SALU_CYCLE_1) | instskip(NEXT) | instid1(SALU_CYCLE_1)
	s_bitset1_b32 s0, 10
	s_mov_b32 m0, s0
	s_sendmsg sendmsg(MSG_INTERRUPT)
	s_mov_b32 m0, ttmp2
.LBB2_1357:                             ; =>This Inner Loop Header: Depth=1
	s_sethalt 5
	s_branch .LBB2_1357
.LBB2_1358:
	s_trap 2
	s_sendmsg_rtn_b32 s0, sendmsg(MSG_RTN_GET_DOORBELL)
	s_mov_b32 ttmp2, m0
	s_waitcnt lgkmcnt(0)
	s_and_b32 s0, s0, 0x3ff
	s_delay_alu instid0(SALU_CYCLE_1) | instskip(NEXT) | instid1(SALU_CYCLE_1)
	s_bitset1_b32 s0, 10
	s_mov_b32 m0, s0
	s_sendmsg sendmsg(MSG_INTERRUPT)
	s_mov_b32 m0, ttmp2
.LBB2_1359:                             ; =>This Inner Loop Header: Depth=1
	s_sethalt 5
	s_branch .LBB2_1359
.LBB2_1360:
	s_trap 2
	s_sendmsg_rtn_b32 s0, sendmsg(MSG_RTN_GET_DOORBELL)
	s_mov_b32 ttmp2, m0
	s_waitcnt lgkmcnt(0)
	s_and_b32 s0, s0, 0x3ff
	s_delay_alu instid0(SALU_CYCLE_1) | instskip(NEXT) | instid1(SALU_CYCLE_1)
	s_bitset1_b32 s0, 10
	s_mov_b32 m0, s0
	s_sendmsg sendmsg(MSG_INTERRUPT)
	s_mov_b32 m0, ttmp2
.LBB2_1361:                             ; =>This Inner Loop Header: Depth=1
	s_sethalt 5
	s_branch .LBB2_1361
.LBB2_1362:
	s_trap 2
	s_sendmsg_rtn_b32 s0, sendmsg(MSG_RTN_GET_DOORBELL)
	s_mov_b32 ttmp2, m0
	s_waitcnt lgkmcnt(0)
	s_and_b32 s0, s0, 0x3ff
	s_delay_alu instid0(SALU_CYCLE_1) | instskip(NEXT) | instid1(SALU_CYCLE_1)
	s_bitset1_b32 s0, 10
	s_mov_b32 m0, s0
	s_sendmsg sendmsg(MSG_INTERRUPT)
	s_mov_b32 m0, ttmp2
.LBB2_1363:                             ; =>This Inner Loop Header: Depth=1
	s_sethalt 5
	s_branch .LBB2_1363
.LBB2_1364:
	s_or_b32 exec_lo, exec_lo, s4
	s_and_saveexec_b32 s4, s5
	s_delay_alu instid0(SALU_CYCLE_1)
	s_xor_b32 s4, exec_lo, s4
	s_cbranch_execz .LBB2_1366
; %bb.1365:
	v_mov_b32_e32 v0, 1
	ds_store_b32 v0, v0
	s_cbranch_execnz .LBB2_1412
.LBB2_1366:
	s_or_b32 exec_lo, exec_lo, s3
	;;#ASMSTART
	s_wakeup
	;;#ASMEND
.LBB2_1367:
	s_or_b32 exec_lo, exec_lo, s2
.LBB2_1368:
	s_and_not1_saveexec_b32 s1, s1
	s_cbranch_execz .LBB2_1370
; %bb.1369:
	s_waitcnt lgkmcnt(0)
	s_waitcnt_vscnt null, 0x0
	buffer_gl1_inv
	buffer_gl0_inv
	s_barrier
.LBB2_1370:
	s_or_b32 exec_lo, exec_lo, s0
.LBB2_1371:
	s_and_not1_saveexec_b32 s21, s15
	s_cbranch_execz .LBB2_1373
; %bb.1372:
	s_getpc_b64 s[0:1]
	s_add_u32 s0, s0, __PRETTY_FUNCTION__._ZN10PrimitivesI6__half10FuncMinMaxIS0_E12FanSymmetricILi1EELi0E11ProtoSimpleILi1ELi1ELi0ELi1ELi0ELi0EELi0ELb0ELi0ELi0ELi0EEC2EiiPKiS9_PKvPvmhhhP15ncclDevWorkCollP14ncclDevWorkP2pii@rel32@lo+4
	s_addc_u32 s1, s1, __PRETTY_FUNCTION__._ZN10PrimitivesI6__half10FuncMinMaxIS0_E12FanSymmetricILi1EELi0E11ProtoSimpleILi1ELi1ELi0ELi1ELi0ELi0EELi0ELb0ELi0ELi0ELi0EEC2EiiPKiS9_PKvPvmhhhP15ncclDevWorkCollP14ncclDevWorkP2pii@rel32@hi+12
	s_delay_alu instid0(SALU_CYCLE_1) | instskip(SKIP_3) | instid1(SALU_CYCLE_1)
	v_dual_mov_b32 v0, s0 :: v_dual_mov_b32 v1, s1
	s_getpc_b64 s[2:3]
	s_add_u32 s2, s2, __assert_fail@rel32@lo+4
	s_addc_u32 s3, s3, __assert_fail@rel32@hi+12
	s_swappc_b64 s[30:31], s[2:3]
	; divergent unreachable
.LBB2_1373:
	s_or_b32 exec_lo, exec_lo, s21
	scratch_load_b32 v40, off, s33          ; 4-byte Folded Reload
	v_readlane_b32 s30, v41, 0
	v_readlane_b32 s31, v41, 1
	;; [unrolled: 1-line block ×3, first 2 shown]
	s_or_saveexec_b32 s1, -1
	scratch_load_b32 v41, off, s33 offset:4 ; 4-byte Folded Reload
	s_mov_b32 exec_lo, s1
	s_add_i32 s32, s32, -16
	s_mov_b32 s33, s0
	s_waitcnt vmcnt(0) lgkmcnt(0)
	s_setpc_b64 s[30:31]
.LBB2_1374:
	s_trap 2
	s_sendmsg_rtn_b32 s0, sendmsg(MSG_RTN_GET_DOORBELL)
	s_mov_b32 ttmp2, m0
	s_waitcnt lgkmcnt(0)
	s_and_b32 s0, s0, 0x3ff
	s_delay_alu instid0(SALU_CYCLE_1) | instskip(NEXT) | instid1(SALU_CYCLE_1)
	s_bitset1_b32 s0, 10
	s_mov_b32 m0, s0
	s_sendmsg sendmsg(MSG_INTERRUPT)
	s_mov_b32 m0, ttmp2
.LBB2_1375:                             ; =>This Inner Loop Header: Depth=1
	s_sethalt 5
	s_branch .LBB2_1375
.LBB2_1376:
	s_trap 2
	s_sendmsg_rtn_b32 s0, sendmsg(MSG_RTN_GET_DOORBELL)
	s_mov_b32 ttmp2, m0
	s_waitcnt lgkmcnt(0)
	s_and_b32 s0, s0, 0x3ff
	s_delay_alu instid0(SALU_CYCLE_1) | instskip(NEXT) | instid1(SALU_CYCLE_1)
	s_bitset1_b32 s0, 10
	s_mov_b32 m0, s0
	s_sendmsg sendmsg(MSG_INTERRUPT)
	s_mov_b32 m0, ttmp2
.LBB2_1377:                             ; =>This Inner Loop Header: Depth=1
	s_sethalt 5
	s_branch .LBB2_1377
.LBB2_1378:
	s_trap 2
	s_sendmsg_rtn_b32 s0, sendmsg(MSG_RTN_GET_DOORBELL)
	s_mov_b32 ttmp2, m0
	s_waitcnt lgkmcnt(0)
	s_and_b32 s0, s0, 0x3ff
	s_delay_alu instid0(SALU_CYCLE_1) | instskip(NEXT) | instid1(SALU_CYCLE_1)
	s_bitset1_b32 s0, 10
	s_mov_b32 m0, s0
	s_sendmsg sendmsg(MSG_INTERRUPT)
	s_mov_b32 m0, ttmp2
.LBB2_1379:                             ; =>This Inner Loop Header: Depth=1
	s_sethalt 5
	s_branch .LBB2_1379
.LBB2_1380:
	s_trap 2
	s_sendmsg_rtn_b32 s0, sendmsg(MSG_RTN_GET_DOORBELL)
	s_mov_b32 ttmp2, m0
	s_waitcnt lgkmcnt(0)
	s_and_b32 s0, s0, 0x3ff
	s_delay_alu instid0(SALU_CYCLE_1) | instskip(NEXT) | instid1(SALU_CYCLE_1)
	s_bitset1_b32 s0, 10
	s_mov_b32 m0, s0
	s_sendmsg sendmsg(MSG_INTERRUPT)
	s_mov_b32 m0, ttmp2
.LBB2_1381:                             ; =>This Inner Loop Header: Depth=1
	s_sethalt 5
	s_branch .LBB2_1381
.LBB2_1382:
	s_trap 2
	s_sendmsg_rtn_b32 s0, sendmsg(MSG_RTN_GET_DOORBELL)
	s_mov_b32 ttmp2, m0
	s_waitcnt lgkmcnt(0)
	s_and_b32 s0, s0, 0x3ff
	s_delay_alu instid0(SALU_CYCLE_1) | instskip(NEXT) | instid1(SALU_CYCLE_1)
	s_bitset1_b32 s0, 10
	s_mov_b32 m0, s0
	s_sendmsg sendmsg(MSG_INTERRUPT)
	s_mov_b32 m0, ttmp2
.LBB2_1383:                             ; =>This Inner Loop Header: Depth=1
	s_sethalt 5
	s_branch .LBB2_1383
.LBB2_1384:
	s_trap 2
	s_sendmsg_rtn_b32 s0, sendmsg(MSG_RTN_GET_DOORBELL)
	s_mov_b32 ttmp2, m0
	s_waitcnt lgkmcnt(0)
	s_and_b32 s0, s0, 0x3ff
	s_delay_alu instid0(SALU_CYCLE_1) | instskip(NEXT) | instid1(SALU_CYCLE_1)
	s_bitset1_b32 s0, 10
	s_mov_b32 m0, s0
	s_sendmsg sendmsg(MSG_INTERRUPT)
	s_mov_b32 m0, ttmp2
.LBB2_1385:                             ; =>This Inner Loop Header: Depth=1
	s_sethalt 5
	s_branch .LBB2_1385
.LBB2_1386:
	s_trap 2
	s_sendmsg_rtn_b32 s0, sendmsg(MSG_RTN_GET_DOORBELL)
	s_mov_b32 ttmp2, m0
	s_waitcnt lgkmcnt(0)
	s_and_b32 s0, s0, 0x3ff
	s_delay_alu instid0(SALU_CYCLE_1) | instskip(NEXT) | instid1(SALU_CYCLE_1)
	s_bitset1_b32 s0, 10
	s_mov_b32 m0, s0
	s_sendmsg sendmsg(MSG_INTERRUPT)
	s_mov_b32 m0, ttmp2
.LBB2_1387:                             ; =>This Inner Loop Header: Depth=1
	s_sethalt 5
	s_branch .LBB2_1387
.LBB2_1388:
	s_trap 2
	s_sendmsg_rtn_b32 s0, sendmsg(MSG_RTN_GET_DOORBELL)
	s_mov_b32 ttmp2, m0
	s_waitcnt lgkmcnt(0)
	s_and_b32 s0, s0, 0x3ff
	s_delay_alu instid0(SALU_CYCLE_1) | instskip(NEXT) | instid1(SALU_CYCLE_1)
	s_bitset1_b32 s0, 10
	s_mov_b32 m0, s0
	s_sendmsg sendmsg(MSG_INTERRUPT)
	s_mov_b32 m0, ttmp2
.LBB2_1389:                             ; =>This Inner Loop Header: Depth=1
	s_sethalt 5
	s_branch .LBB2_1389
.LBB2_1390:
	s_trap 2
	s_sendmsg_rtn_b32 s0, sendmsg(MSG_RTN_GET_DOORBELL)
	s_mov_b32 ttmp2, m0
	s_waitcnt lgkmcnt(0)
	s_and_b32 s0, s0, 0x3ff
	s_delay_alu instid0(SALU_CYCLE_1) | instskip(NEXT) | instid1(SALU_CYCLE_1)
	s_bitset1_b32 s0, 10
	s_mov_b32 m0, s0
	s_sendmsg sendmsg(MSG_INTERRUPT)
	s_mov_b32 m0, ttmp2
.LBB2_1391:                             ; =>This Inner Loop Header: Depth=1
	s_sethalt 5
	s_branch .LBB2_1391
.LBB2_1392:
	s_trap 2
	s_sendmsg_rtn_b32 s0, sendmsg(MSG_RTN_GET_DOORBELL)
	s_mov_b32 ttmp2, m0
	s_waitcnt lgkmcnt(0)
	s_and_b32 s0, s0, 0x3ff
	s_delay_alu instid0(SALU_CYCLE_1) | instskip(NEXT) | instid1(SALU_CYCLE_1)
	s_bitset1_b32 s0, 10
	s_mov_b32 m0, s0
	s_sendmsg sendmsg(MSG_INTERRUPT)
	s_mov_b32 m0, ttmp2
.LBB2_1393:                             ; =>This Inner Loop Header: Depth=1
	s_sethalt 5
	s_branch .LBB2_1393
.LBB2_1394:
	s_trap 2
	s_sendmsg_rtn_b32 s0, sendmsg(MSG_RTN_GET_DOORBELL)
	s_mov_b32 ttmp2, m0
	s_waitcnt lgkmcnt(0)
	s_and_b32 s0, s0, 0x3ff
	s_delay_alu instid0(SALU_CYCLE_1) | instskip(NEXT) | instid1(SALU_CYCLE_1)
	s_bitset1_b32 s0, 10
	s_mov_b32 m0, s0
	s_sendmsg sendmsg(MSG_INTERRUPT)
	s_mov_b32 m0, ttmp2
.LBB2_1395:                             ; =>This Inner Loop Header: Depth=1
	s_sethalt 5
	s_branch .LBB2_1395
.LBB2_1396:
	s_trap 2
	s_sendmsg_rtn_b32 s0, sendmsg(MSG_RTN_GET_DOORBELL)
	s_mov_b32 ttmp2, m0
	s_waitcnt lgkmcnt(0)
	s_and_b32 s0, s0, 0x3ff
	s_delay_alu instid0(SALU_CYCLE_1) | instskip(NEXT) | instid1(SALU_CYCLE_1)
	s_bitset1_b32 s0, 10
	s_mov_b32 m0, s0
	s_sendmsg sendmsg(MSG_INTERRUPT)
	s_mov_b32 m0, ttmp2
.LBB2_1397:                             ; =>This Inner Loop Header: Depth=1
	s_sethalt 5
	s_branch .LBB2_1397
.LBB2_1398:
	s_trap 2
	s_sendmsg_rtn_b32 s0, sendmsg(MSG_RTN_GET_DOORBELL)
	s_mov_b32 ttmp2, m0
	s_waitcnt lgkmcnt(0)
	s_and_b32 s0, s0, 0x3ff
	s_delay_alu instid0(SALU_CYCLE_1) | instskip(NEXT) | instid1(SALU_CYCLE_1)
	s_bitset1_b32 s0, 10
	s_mov_b32 m0, s0
	s_sendmsg sendmsg(MSG_INTERRUPT)
	s_mov_b32 m0, ttmp2
.LBB2_1399:                             ; =>This Inner Loop Header: Depth=1
	s_sethalt 5
	s_branch .LBB2_1399
.LBB2_1400:
	s_trap 2
	s_sendmsg_rtn_b32 s0, sendmsg(MSG_RTN_GET_DOORBELL)
	s_mov_b32 ttmp2, m0
	s_waitcnt lgkmcnt(0)
	s_and_b32 s0, s0, 0x3ff
	s_delay_alu instid0(SALU_CYCLE_1) | instskip(NEXT) | instid1(SALU_CYCLE_1)
	s_bitset1_b32 s0, 10
	s_mov_b32 m0, s0
	s_sendmsg sendmsg(MSG_INTERRUPT)
	s_mov_b32 m0, ttmp2
.LBB2_1401:                             ; =>This Inner Loop Header: Depth=1
	s_sethalt 5
	s_branch .LBB2_1401
.LBB2_1402:
	s_trap 2
	s_sendmsg_rtn_b32 s0, sendmsg(MSG_RTN_GET_DOORBELL)
	s_mov_b32 ttmp2, m0
	s_waitcnt lgkmcnt(0)
	s_and_b32 s0, s0, 0x3ff
	s_delay_alu instid0(SALU_CYCLE_1) | instskip(NEXT) | instid1(SALU_CYCLE_1)
	s_bitset1_b32 s0, 10
	s_mov_b32 m0, s0
	s_sendmsg sendmsg(MSG_INTERRUPT)
	s_mov_b32 m0, ttmp2
.LBB2_1403:                             ; =>This Inner Loop Header: Depth=1
	s_sethalt 5
	s_branch .LBB2_1403
.LBB2_1404:
	s_trap 2
	s_sendmsg_rtn_b32 s0, sendmsg(MSG_RTN_GET_DOORBELL)
	s_mov_b32 ttmp2, m0
	s_waitcnt lgkmcnt(0)
	s_and_b32 s0, s0, 0x3ff
	s_delay_alu instid0(SALU_CYCLE_1) | instskip(NEXT) | instid1(SALU_CYCLE_1)
	s_bitset1_b32 s0, 10
	s_mov_b32 m0, s0
	s_sendmsg sendmsg(MSG_INTERRUPT)
	s_mov_b32 m0, ttmp2
.LBB2_1405:                             ; =>This Inner Loop Header: Depth=1
	s_sethalt 5
	s_branch .LBB2_1405
.LBB2_1406:
	s_trap 2
	s_sendmsg_rtn_b32 s0, sendmsg(MSG_RTN_GET_DOORBELL)
	s_mov_b32 ttmp2, m0
	s_waitcnt lgkmcnt(0)
	s_and_b32 s0, s0, 0x3ff
	s_delay_alu instid0(SALU_CYCLE_1) | instskip(NEXT) | instid1(SALU_CYCLE_1)
	s_bitset1_b32 s0, 10
	s_mov_b32 m0, s0
	s_sendmsg sendmsg(MSG_INTERRUPT)
	s_mov_b32 m0, ttmp2
.LBB2_1407:                             ; =>This Inner Loop Header: Depth=1
	s_sethalt 5
	s_branch .LBB2_1407
.LBB2_1408:
	s_trap 2
	s_sendmsg_rtn_b32 s0, sendmsg(MSG_RTN_GET_DOORBELL)
	s_mov_b32 ttmp2, m0
	s_waitcnt lgkmcnt(0)
	s_and_b32 s0, s0, 0x3ff
	s_delay_alu instid0(SALU_CYCLE_1) | instskip(NEXT) | instid1(SALU_CYCLE_1)
	s_bitset1_b32 s0, 10
	s_mov_b32 m0, s0
	s_sendmsg sendmsg(MSG_INTERRUPT)
	s_mov_b32 m0, ttmp2
.LBB2_1409:                             ; =>This Inner Loop Header: Depth=1
	s_sethalt 5
	s_branch .LBB2_1409
.LBB2_1410:
	s_trap 2
	s_sendmsg_rtn_b32 s0, sendmsg(MSG_RTN_GET_DOORBELL)
	s_mov_b32 ttmp2, m0
	s_waitcnt lgkmcnt(0)
	s_and_b32 s0, s0, 0x3ff
	s_delay_alu instid0(SALU_CYCLE_1) | instskip(NEXT) | instid1(SALU_CYCLE_1)
	s_bitset1_b32 s0, 10
	s_mov_b32 m0, s0
	s_sendmsg sendmsg(MSG_INTERRUPT)
	s_mov_b32 m0, ttmp2
.LBB2_1411:                             ; =>This Inner Loop Header: Depth=1
	s_sethalt 5
	s_branch .LBB2_1411
.LBB2_1412:
	s_trap 2
	s_sendmsg_rtn_b32 s0, sendmsg(MSG_RTN_GET_DOORBELL)
	s_mov_b32 ttmp2, m0
	s_waitcnt lgkmcnt(0)
	s_and_b32 s0, s0, 0x3ff
	s_delay_alu instid0(SALU_CYCLE_1) | instskip(NEXT) | instid1(SALU_CYCLE_1)
	s_bitset1_b32 s0, 10
	s_mov_b32 m0, s0
	s_sendmsg sendmsg(MSG_INTERRUPT)
	s_mov_b32 m0, ttmp2
.LBB2_1413:                             ; =>This Inner Loop Header: Depth=1
	s_sethalt 5
	s_branch .LBB2_1413
.LBB2_1414:
	s_trap 2
	s_sendmsg_rtn_b32 s0, sendmsg(MSG_RTN_GET_DOORBELL)
	s_mov_b32 ttmp2, m0
	s_waitcnt lgkmcnt(0)
	s_and_b32 s0, s0, 0x3ff
	s_delay_alu instid0(SALU_CYCLE_1) | instskip(NEXT) | instid1(SALU_CYCLE_1)
	s_bitset1_b32 s0, 10
	s_mov_b32 m0, s0
	s_sendmsg sendmsg(MSG_INTERRUPT)
	s_mov_b32 m0, ttmp2
.LBB2_1415:                             ; =>This Inner Loop Header: Depth=1
	s_sethalt 5
	s_branch .LBB2_1415
.LBB2_1416:
	s_trap 2
	s_sendmsg_rtn_b32 s0, sendmsg(MSG_RTN_GET_DOORBELL)
	s_mov_b32 ttmp2, m0
	s_waitcnt lgkmcnt(0)
	s_and_b32 s0, s0, 0x3ff
	s_delay_alu instid0(SALU_CYCLE_1) | instskip(NEXT) | instid1(SALU_CYCLE_1)
	s_bitset1_b32 s0, 10
	s_mov_b32 m0, s0
	s_sendmsg sendmsg(MSG_INTERRUPT)
	s_mov_b32 m0, ttmp2
.LBB2_1417:                             ; =>This Inner Loop Header: Depth=1
	s_sethalt 5
	s_branch .LBB2_1417
.LBB2_1418:
	s_trap 2
	s_sendmsg_rtn_b32 s0, sendmsg(MSG_RTN_GET_DOORBELL)
	s_mov_b32 ttmp2, m0
	s_waitcnt lgkmcnt(0)
	s_and_b32 s0, s0, 0x3ff
	s_delay_alu instid0(SALU_CYCLE_1) | instskip(NEXT) | instid1(SALU_CYCLE_1)
	s_bitset1_b32 s0, 10
	s_mov_b32 m0, s0
	s_sendmsg sendmsg(MSG_INTERRUPT)
	s_mov_b32 m0, ttmp2
.LBB2_1419:                             ; =>This Inner Loop Header: Depth=1
	s_sethalt 5
	s_branch .LBB2_1419
.LBB2_1420:
	s_trap 2
	s_sendmsg_rtn_b32 s0, sendmsg(MSG_RTN_GET_DOORBELL)
	s_mov_b32 ttmp2, m0
	s_waitcnt lgkmcnt(0)
	s_and_b32 s0, s0, 0x3ff
	s_delay_alu instid0(SALU_CYCLE_1) | instskip(NEXT) | instid1(SALU_CYCLE_1)
	s_bitset1_b32 s0, 10
	s_mov_b32 m0, s0
	s_sendmsg sendmsg(MSG_INTERRUPT)
	s_mov_b32 m0, ttmp2
.LBB2_1421:                             ; =>This Inner Loop Header: Depth=1
	s_sethalt 5
	s_branch .LBB2_1421
.LBB2_1422:
	s_trap 2
	s_sendmsg_rtn_b32 s0, sendmsg(MSG_RTN_GET_DOORBELL)
	s_mov_b32 ttmp2, m0
	s_waitcnt lgkmcnt(0)
	s_and_b32 s0, s0, 0x3ff
	s_delay_alu instid0(SALU_CYCLE_1) | instskip(NEXT) | instid1(SALU_CYCLE_1)
	s_bitset1_b32 s0, 10
	s_mov_b32 m0, s0
	s_sendmsg sendmsg(MSG_INTERRUPT)
	s_mov_b32 m0, ttmp2
.LBB2_1423:                             ; =>This Inner Loop Header: Depth=1
	s_sethalt 5
	s_branch .LBB2_1423
.LBB2_1424:
	s_trap 2
	s_sendmsg_rtn_b32 s0, sendmsg(MSG_RTN_GET_DOORBELL)
	s_mov_b32 ttmp2, m0
	s_waitcnt lgkmcnt(0)
	s_and_b32 s0, s0, 0x3ff
	s_delay_alu instid0(SALU_CYCLE_1) | instskip(NEXT) | instid1(SALU_CYCLE_1)
	s_bitset1_b32 s0, 10
	s_mov_b32 m0, s0
	s_sendmsg sendmsg(MSG_INTERRUPT)
	s_mov_b32 m0, ttmp2
.LBB2_1425:                             ; =>This Inner Loop Header: Depth=1
	s_sethalt 5
	s_branch .LBB2_1425
.LBB2_1426:
	s_trap 2
	s_sendmsg_rtn_b32 s0, sendmsg(MSG_RTN_GET_DOORBELL)
	s_mov_b32 ttmp2, m0
	s_waitcnt lgkmcnt(0)
	s_and_b32 s0, s0, 0x3ff
	s_delay_alu instid0(SALU_CYCLE_1) | instskip(NEXT) | instid1(SALU_CYCLE_1)
	s_bitset1_b32 s0, 10
	s_mov_b32 m0, s0
	s_sendmsg sendmsg(MSG_INTERRUPT)
	s_mov_b32 m0, ttmp2
.LBB2_1427:                             ; =>This Inner Loop Header: Depth=1
	s_sethalt 5
	s_branch .LBB2_1427
.LBB2_1428:
	s_trap 2
	s_sendmsg_rtn_b32 s0, sendmsg(MSG_RTN_GET_DOORBELL)
	s_mov_b32 ttmp2, m0
	s_waitcnt lgkmcnt(0)
	s_and_b32 s0, s0, 0x3ff
	s_delay_alu instid0(SALU_CYCLE_1) | instskip(NEXT) | instid1(SALU_CYCLE_1)
	s_bitset1_b32 s0, 10
	s_mov_b32 m0, s0
	s_sendmsg sendmsg(MSG_INTERRUPT)
	s_mov_b32 m0, ttmp2
.LBB2_1429:                             ; =>This Inner Loop Header: Depth=1
	s_sethalt 5
	s_branch .LBB2_1429
.LBB2_1430:
	s_trap 2
	s_sendmsg_rtn_b32 s0, sendmsg(MSG_RTN_GET_DOORBELL)
	s_mov_b32 ttmp2, m0
	s_waitcnt lgkmcnt(0)
	s_and_b32 s0, s0, 0x3ff
	s_delay_alu instid0(SALU_CYCLE_1) | instskip(NEXT) | instid1(SALU_CYCLE_1)
	s_bitset1_b32 s0, 10
	s_mov_b32 m0, s0
	s_sendmsg sendmsg(MSG_INTERRUPT)
	s_mov_b32 m0, ttmp2
.LBB2_1431:                             ; =>This Inner Loop Header: Depth=1
	s_sethalt 5
	s_branch .LBB2_1431
.LBB2_1432:
	s_trap 2
	s_sendmsg_rtn_b32 s0, sendmsg(MSG_RTN_GET_DOORBELL)
	s_mov_b32 ttmp2, m0
	s_waitcnt lgkmcnt(0)
	s_and_b32 s0, s0, 0x3ff
	s_delay_alu instid0(SALU_CYCLE_1) | instskip(NEXT) | instid1(SALU_CYCLE_1)
	s_bitset1_b32 s0, 10
	s_mov_b32 m0, s0
	s_sendmsg sendmsg(MSG_INTERRUPT)
	s_mov_b32 m0, ttmp2
.LBB2_1433:                             ; =>This Inner Loop Header: Depth=1
	s_sethalt 5
	s_branch .LBB2_1433
.LBB2_1434:
	s_trap 2
	s_sendmsg_rtn_b32 s0, sendmsg(MSG_RTN_GET_DOORBELL)
	s_mov_b32 ttmp2, m0
	s_waitcnt lgkmcnt(0)
	s_and_b32 s0, s0, 0x3ff
	s_delay_alu instid0(SALU_CYCLE_1) | instskip(NEXT) | instid1(SALU_CYCLE_1)
	s_bitset1_b32 s0, 10
	s_mov_b32 m0, s0
	s_sendmsg sendmsg(MSG_INTERRUPT)
	s_mov_b32 m0, ttmp2
.LBB2_1435:                             ; =>This Inner Loop Header: Depth=1
	s_sethalt 5
	s_branch .LBB2_1435
.LBB2_1436:
	s_trap 2
	s_sendmsg_rtn_b32 s0, sendmsg(MSG_RTN_GET_DOORBELL)
	s_mov_b32 ttmp2, m0
	s_waitcnt lgkmcnt(0)
	s_and_b32 s0, s0, 0x3ff
	s_delay_alu instid0(SALU_CYCLE_1) | instskip(NEXT) | instid1(SALU_CYCLE_1)
	s_bitset1_b32 s0, 10
	s_mov_b32 m0, s0
	s_sendmsg sendmsg(MSG_INTERRUPT)
	s_mov_b32 m0, ttmp2
.LBB2_1437:                             ; =>This Inner Loop Header: Depth=1
	s_sethalt 5
	s_branch .LBB2_1437
.LBB2_1438:
	s_trap 2
	s_sendmsg_rtn_b32 s0, sendmsg(MSG_RTN_GET_DOORBELL)
	s_mov_b32 ttmp2, m0
	s_waitcnt lgkmcnt(0)
	s_and_b32 s0, s0, 0x3ff
	s_delay_alu instid0(SALU_CYCLE_1) | instskip(NEXT) | instid1(SALU_CYCLE_1)
	s_bitset1_b32 s0, 10
	s_mov_b32 m0, s0
	s_sendmsg sendmsg(MSG_INTERRUPT)
	s_mov_b32 m0, ttmp2
.LBB2_1439:                             ; =>This Inner Loop Header: Depth=1
	s_sethalt 5
	s_branch .LBB2_1439
.LBB2_1440:
	s_trap 2
	s_sendmsg_rtn_b32 s0, sendmsg(MSG_RTN_GET_DOORBELL)
	s_mov_b32 ttmp2, m0
	s_waitcnt lgkmcnt(0)
	s_and_b32 s0, s0, 0x3ff
	s_delay_alu instid0(SALU_CYCLE_1) | instskip(NEXT) | instid1(SALU_CYCLE_1)
	s_bitset1_b32 s0, 10
	s_mov_b32 m0, s0
	s_sendmsg sendmsg(MSG_INTERRUPT)
	s_mov_b32 m0, ttmp2
.LBB2_1441:                             ; =>This Inner Loop Header: Depth=1
	s_sethalt 5
	s_branch .LBB2_1441
.LBB2_1442:
	s_trap 2
	s_sendmsg_rtn_b32 s0, sendmsg(MSG_RTN_GET_DOORBELL)
	s_mov_b32 ttmp2, m0
	s_waitcnt lgkmcnt(0)
	s_and_b32 s0, s0, 0x3ff
	s_delay_alu instid0(SALU_CYCLE_1) | instskip(NEXT) | instid1(SALU_CYCLE_1)
	s_bitset1_b32 s0, 10
	s_mov_b32 m0, s0
	s_sendmsg sendmsg(MSG_INTERRUPT)
	s_mov_b32 m0, ttmp2
.LBB2_1443:                             ; =>This Inner Loop Header: Depth=1
	s_sethalt 5
	s_branch .LBB2_1443
.LBB2_1444:
	s_trap 2
	s_sendmsg_rtn_b32 s0, sendmsg(MSG_RTN_GET_DOORBELL)
	s_mov_b32 ttmp2, m0
	s_waitcnt lgkmcnt(0)
	s_and_b32 s0, s0, 0x3ff
	s_delay_alu instid0(SALU_CYCLE_1) | instskip(NEXT) | instid1(SALU_CYCLE_1)
	s_bitset1_b32 s0, 10
	s_mov_b32 m0, s0
	s_sendmsg sendmsg(MSG_INTERRUPT)
	s_mov_b32 m0, ttmp2
.LBB2_1445:                             ; =>This Inner Loop Header: Depth=1
	s_sethalt 5
	s_branch .LBB2_1445
.LBB2_1446:
	s_trap 2
	s_sendmsg_rtn_b32 s0, sendmsg(MSG_RTN_GET_DOORBELL)
	s_mov_b32 ttmp2, m0
	s_waitcnt lgkmcnt(0)
	s_and_b32 s0, s0, 0x3ff
	s_delay_alu instid0(SALU_CYCLE_1) | instskip(NEXT) | instid1(SALU_CYCLE_1)
	s_bitset1_b32 s0, 10
	s_mov_b32 m0, s0
	s_sendmsg sendmsg(MSG_INTERRUPT)
	s_mov_b32 m0, ttmp2
.LBB2_1447:                             ; =>This Inner Loop Header: Depth=1
	s_sethalt 5
	s_branch .LBB2_1447
.LBB2_1448:
	s_trap 2
	s_sendmsg_rtn_b32 s0, sendmsg(MSG_RTN_GET_DOORBELL)
	s_mov_b32 ttmp2, m0
	s_waitcnt lgkmcnt(0)
	s_and_b32 s0, s0, 0x3ff
	s_delay_alu instid0(SALU_CYCLE_1) | instskip(NEXT) | instid1(SALU_CYCLE_1)
	s_bitset1_b32 s0, 10
	s_mov_b32 m0, s0
	s_sendmsg sendmsg(MSG_INTERRUPT)
	s_mov_b32 m0, ttmp2
.LBB2_1449:                             ; =>This Inner Loop Header: Depth=1
	s_sethalt 5
	s_branch .LBB2_1449
.Lfunc_end2:
	.size	_ZN12_GLOBAL__N_17runRingI6__half10FuncMinMaxIS1_E11ProtoSimpleILi1ELi1ELi0ELi1ELi0ELi0EELi0ELi1ELi0EEEviiP15ncclDevWorkColl, .Lfunc_end2-_ZN12_GLOBAL__N_17runRingI6__half10FuncMinMaxIS1_E11ProtoSimpleILi1ELi1ELi0ELi1ELi0ELi0EELi0ELi1ELi0EEEviiP15ncclDevWorkColl
                                        ; -- End function
	.section	.AMDGPU.csdata,"",@progbits
; Function info:
; codeLenInByte = 38844
; NumSgprs: 36
; NumVgprs: 118
; ScratchSize: 80
; MemoryBound: 1
	.text
	.p2align	2                               ; -- Begin function _Z47ncclDevFunc_Reduce_RING_SIMPLE_MinMax_f16_0_0_1v
	.type	_Z47ncclDevFunc_Reduce_RING_SIMPLE_MinMax_f16_0_0_1v,@function
_Z47ncclDevFunc_Reduce_RING_SIMPLE_MinMax_f16_0_0_1v: ; @_Z47ncclDevFunc_Reduce_RING_SIMPLE_MinMax_f16_0_0_1v
; %bb.0:
	s_waitcnt vmcnt(0) expcnt(0) lgkmcnt(0)
	s_mov_b32 s0, s33
	s_mov_b32 s33, s32
	s_or_saveexec_b32 s1, -1
	scratch_store_b32 off, v40, s33 offset:4 ; 4-byte Folded Spill
	s_mov_b32 exec_lo, s1
	v_writelane_b32 v40, s0, 8
	s_add_i32 s32, s32, 16
	scratch_store_b32 off, v41, s33         ; 4-byte Folded Spill
	v_writelane_b32 v40, s34, 0
	v_writelane_b32 v40, s35, 1
	;; [unrolled: 1-line block ×8, first 2 shown]
	s_cbranch_execnz .LBB3_7
; %bb.1:
	ds_load_b32 v0, v0
	v_and_b32_e32 v118, 0x3ff, v31
	s_mov_b32 s0, exec_lo
	s_waitcnt lgkmcnt(0)
	s_delay_alu instid0(VALU_DEP_1)
	v_cmpx_lt_i32_e64 v118, v0
	s_cbranch_execz .LBB3_9
; %bb.2:
	s_load_b32 s1, s[8:9], 0x0
	v_mov_b32_e32 v1, 0
	s_waitcnt lgkmcnt(0)
	s_cmp_lt_u32 s12, s1
	s_cselect_b32 s1, 12, 18
	s_delay_alu instid0(SALU_CYCLE_1)
	s_add_u32 s2, s8, s1
	s_addc_u32 s3, s9, 0
	s_mov_b32 s1, 0
	global_load_u16 v1, v1, s[2:3]
	s_cbranch_execnz .LBB3_24
; %bb.3:
	ds_load_b32 v2, v0
	v_mov_b32_e32 v3, v118
	s_mov_b32 s2, 0
                                        ; implicit-def: $vgpr4
	s_waitcnt vmcnt(0) lgkmcnt(0)
	v_mul_lo_u32 v2, v2, v1
	s_branch .LBB3_5
	.p2align	6
.LBB3_4:                                ;   in Loop: Header=BB3_5 Depth=1
	s_or_b32 exec_lo, exec_lo, s3
	v_add_nc_u32_e32 v3, v3, v1
	v_add_nc_u32_e32 v4, v4, v2
	s_delay_alu instid0(VALU_DEP_2) | instskip(SKIP_1) | instid1(SALU_CYCLE_1)
	v_cmp_ge_i32_e32 vcc_lo, v3, v0
	s_or_b32 s1, vcc_lo, s1
	s_and_not1_b32 exec_lo, exec_lo, s1
	s_cbranch_execz .LBB3_9
.LBB3_5:                                ; =>This Inner Loop Header: Depth=1
	ds_load_b32 v5, v4
	s_mov_b32 s3, exec_lo
	s_waitcnt lgkmcnt(0)
	v_and_b32_e32 v5, 0x1000000, v5
	s_delay_alu instid0(VALU_DEP_1)
	v_cmpx_ne_u32_e32 0, v5
	s_cbranch_execz .LBB3_4
; %bb.6:                                ;   in Loop: Header=BB3_5 Depth=1
	ds_load_b64 v[5:6], v4 offset:104
	s_waitcnt lgkmcnt(0)
	flat_load_u16 v5, v[5:6]
	s_waitcnt vmcnt(0) lgkmcnt(0)
	v_dual_mov_b32 v6, s2 :: v_dual_and_b32 v5, 0xffff, v5
	ds_store_b64 v4, v[5:6] offset:104
	s_branch .LBB3_4
.LBB3_7:
	s_trap 2
	s_sendmsg_rtn_b32 s0, sendmsg(MSG_RTN_GET_DOORBELL)
	s_mov_b32 ttmp2, m0
	s_waitcnt lgkmcnt(0)
	s_and_b32 s0, s0, 0x3ff
	s_delay_alu instid0(SALU_CYCLE_1) | instskip(NEXT) | instid1(SALU_CYCLE_1)
	s_bitset1_b32 s0, 10
	s_mov_b32 m0, s0
	s_sendmsg sendmsg(MSG_INTERRUPT)
	s_mov_b32 m0, ttmp2
.LBB3_8:                                ; =>This Inner Loop Header: Depth=1
	s_sethalt 5
	s_branch .LBB3_8
.LBB3_9:
	s_or_b32 exec_lo, exec_lo, s0
	s_waitcnt lgkmcnt(0)
	s_waitcnt_vscnt null, 0x0
	s_barrier
	buffer_gl0_inv
	s_cbranch_execnz .LBB3_22
; %bb.10:
	ds_load_b32 v0, v0
	s_waitcnt lgkmcnt(0)
	v_cmp_gt_i32_e32 vcc_lo, 1, v0
	s_cbranch_vccnz .LBB3_21
; %bb.11:
	s_mov_b32 s38, 0
	s_mov_b64 s[36:37], src_shared_base
.LBB3_12:                               ; =>This Inner Loop Header: Depth=1
	s_cbranch_execnz .LBB3_26
; %bb.13:                               ;   in Loop: Header=BB3_12 Depth=1
	ds_load_b32 v0, v0
	s_cmp_eq_u32 s38, 0
	s_cbranch_scc1 .LBB3_17
; %bb.14:                               ;   in Loop: Header=BB3_12 Depth=1
	s_cbranch_execnz .LBB3_30
; %bb.15:                               ;   in Loop: Header=BB3_12 Depth=1
	s_waitcnt lgkmcnt(0)
	ds_load_b32 v1, v0
	s_waitcnt lgkmcnt(0)
	v_xor_b32_e32 v1, v1, v0
	s_delay_alu instid0(VALU_DEP_1) | instskip(NEXT) | instid1(VALU_DEP_1)
	v_and_b32_e32 v1, 0xff0000, v1
	v_cmp_eq_u32_e32 vcc_lo, 0, v1
	s_cbranch_vccnz .LBB3_17
; %bb.16:                               ;   in Loop: Header=BB3_12 Depth=1
	s_waitcnt_vscnt null, 0x0
	s_barrier
	buffer_gl0_inv
	ds_load_b32 v0, v0
.LBB3_17:                               ;   in Loop: Header=BB3_12 Depth=1
	s_waitcnt lgkmcnt(0)
	v_lshrrev_b32_e32 v0, 11, v0
	s_mov_b32 s39, exec_lo
	s_delay_alu instid0(VALU_DEP_1) | instskip(NEXT) | instid1(VALU_DEP_1)
	v_and_b32_e32 v1, 0x1fe0, v0
	v_cmpx_lt_u32_e64 v118, v1
	s_cbranch_execz .LBB3_19
; %bb.18:                               ;   in Loop: Header=BB3_12 Depth=1
	v_dual_mov_b32 v119, v31 :: v_dual_mov_b32 v0, v118
	v_mov_b32_e32 v3, s37
	s_getpc_b64 s[0:1]
	s_add_u32 s0, s0, _ZN12_GLOBAL__N_17runRingI6__half10FuncMinMaxIS1_E11ProtoSimpleILi1ELi1ELi0ELi1ELi0ELi0EELi0ELi1ELi0EEEviiP15ncclDevWorkColl@rel32@lo+4
	s_addc_u32 s1, s1, _ZN12_GLOBAL__N_17runRingI6__half10FuncMinMaxIS1_E11ProtoSimpleILi1ELi1ELi0ELi1ELi0ELi0EELi0ELi1ELi0EEEviiP15ncclDevWorkColl@rel32@hi+12
	s_mov_b64 s[34:35], s[8:9]
	s_mov_b32 s36, s12
	s_swappc_b64 s[30:31], s[0:1]
	v_mov_b32_e32 v31, v119
	s_mov_b32 s12, s36
	s_mov_b64 s[8:9], s[34:35]
.LBB3_19:                               ;   in Loop: Header=BB3_12 Depth=1
	s_or_b32 exec_lo, exec_lo, s39
	s_cbranch_execnz .LBB3_28
; %bb.20:                               ;   in Loop: Header=BB3_12 Depth=1
	ds_load_b32 v0, v0
	s_add_i32 s38, s38, 1
	s_waitcnt lgkmcnt(0)
	v_cmp_lt_i32_e32 vcc_lo, s38, v0
	s_cbranch_vccnz .LBB3_12
.LBB3_21:
	scratch_load_b32 v41, off, s33          ; 4-byte Folded Reload
	v_readlane_b32 s30, v40, 6
	v_readlane_b32 s31, v40, 7
	v_readlane_b32 s39, v40, 5
	v_readlane_b32 s38, v40, 4
	v_readlane_b32 s37, v40, 3
	v_readlane_b32 s36, v40, 2
	v_readlane_b32 s35, v40, 1
	v_readlane_b32 s34, v40, 0
	v_readlane_b32 s0, v40, 8
	s_or_saveexec_b32 s1, -1
	scratch_load_b32 v40, off, s33 offset:4 ; 4-byte Folded Reload
	s_mov_b32 exec_lo, s1
	s_add_i32 s32, s32, -16
	s_mov_b32 s33, s0
	s_waitcnt vmcnt(0)
	s_setpc_b64 s[30:31]
.LBB3_22:
	s_trap 2
	s_sendmsg_rtn_b32 s0, sendmsg(MSG_RTN_GET_DOORBELL)
	s_mov_b32 ttmp2, m0
	s_waitcnt lgkmcnt(0)
	s_and_b32 s0, s0, 0x3ff
	s_delay_alu instid0(SALU_CYCLE_1) | instskip(NEXT) | instid1(SALU_CYCLE_1)
	s_bitset1_b32 s0, 10
	s_mov_b32 m0, s0
	s_sendmsg sendmsg(MSG_INTERRUPT)
	s_mov_b32 m0, ttmp2
.LBB3_23:                               ; =>This Inner Loop Header: Depth=1
	s_sethalt 5
	s_branch .LBB3_23
.LBB3_24:
	s_trap 2
	s_sendmsg_rtn_b32 s0, sendmsg(MSG_RTN_GET_DOORBELL)
	s_mov_b32 ttmp2, m0
	s_waitcnt lgkmcnt(0)
	s_and_b32 s0, s0, 0x3ff
	s_delay_alu instid0(SALU_CYCLE_1) | instskip(NEXT) | instid1(SALU_CYCLE_1)
	s_bitset1_b32 s0, 10
	s_mov_b32 m0, s0
	s_sendmsg sendmsg(MSG_INTERRUPT)
	s_mov_b32 m0, ttmp2
.LBB3_25:                               ; =>This Inner Loop Header: Depth=1
	s_sethalt 5
	s_branch .LBB3_25
.LBB3_26:
	s_trap 2
	s_sendmsg_rtn_b32 s0, sendmsg(MSG_RTN_GET_DOORBELL)
	s_mov_b32 ttmp2, m0
	s_waitcnt lgkmcnt(0)
	s_and_b32 s0, s0, 0x3ff
	s_delay_alu instid0(SALU_CYCLE_1) | instskip(NEXT) | instid1(SALU_CYCLE_1)
	s_bitset1_b32 s0, 10
	s_mov_b32 m0, s0
	s_sendmsg sendmsg(MSG_INTERRUPT)
	s_mov_b32 m0, ttmp2
.LBB3_27:                               ; =>This Inner Loop Header: Depth=1
	s_sethalt 5
	s_branch .LBB3_27
.LBB3_28:
	s_trap 2
	s_sendmsg_rtn_b32 s0, sendmsg(MSG_RTN_GET_DOORBELL)
	s_mov_b32 ttmp2, m0
	s_waitcnt lgkmcnt(0)
	s_and_b32 s0, s0, 0x3ff
	s_delay_alu instid0(SALU_CYCLE_1) | instskip(NEXT) | instid1(SALU_CYCLE_1)
	s_bitset1_b32 s0, 10
	s_mov_b32 m0, s0
	s_sendmsg sendmsg(MSG_INTERRUPT)
	s_mov_b32 m0, ttmp2
.LBB3_29:                               ; =>This Inner Loop Header: Depth=1
	s_sethalt 5
	s_branch .LBB3_29
.LBB3_30:
	s_trap 2
	s_sendmsg_rtn_b32 s0, sendmsg(MSG_RTN_GET_DOORBELL)
	s_mov_b32 ttmp2, m0
	s_waitcnt lgkmcnt(0)
	s_and_b32 s0, s0, 0x3ff
	s_delay_alu instid0(SALU_CYCLE_1) | instskip(NEXT) | instid1(SALU_CYCLE_1)
	s_bitset1_b32 s0, 10
	s_mov_b32 m0, s0
	s_sendmsg sendmsg(MSG_INTERRUPT)
	s_mov_b32 m0, ttmp2
.LBB3_31:                               ; =>This Inner Loop Header: Depth=1
	s_sethalt 5
	s_branch .LBB3_31
.Lfunc_end3:
	.size	_Z47ncclDevFunc_Reduce_RING_SIMPLE_MinMax_f16_0_0_1v, .Lfunc_end3-_Z47ncclDevFunc_Reduce_RING_SIMPLE_MinMax_f16_0_0_1v
                                        ; -- End function
	.section	.AMDGPU.csdata,"",@progbits
; Function info:
; codeLenInByte = 1048
; NumSgprs: 42
; NumVgprs: 120
; ScratchSize: 96
; MemoryBound: 0
	.text
	.p2align	2                               ; -- Begin function _ZN12_GLOBAL__N_17runRingI6__half10FuncMinMaxIS1_E11ProtoSimpleILi1ELi1ELi0ELi2ELi0ELi0EELi0ELi2ELi0EEEviiP15ncclDevWorkColl
	.type	_ZN12_GLOBAL__N_17runRingI6__half10FuncMinMaxIS1_E11ProtoSimpleILi1ELi1ELi0ELi2ELi0ELi0EELi0ELi2ELi0EEEviiP15ncclDevWorkColl,@function
_ZN12_GLOBAL__N_17runRingI6__half10FuncMinMaxIS1_E11ProtoSimpleILi1ELi1ELi0ELi2ELi0ELi0EELi0ELi2ELi0EEEviiP15ncclDevWorkColl: ; @_ZN12_GLOBAL__N_17runRingI6__half10FuncMinMaxIS1_E11ProtoSimpleILi1ELi1ELi0ELi2ELi0ELi0EELi0ELi2ELi0EEEviiP15ncclDevWorkColl
; %bb.0:
	s_waitcnt vmcnt(0) expcnt(0) lgkmcnt(0)
	s_mov_b32 s0, s33
	s_mov_b32 s33, s32
	s_or_saveexec_b32 s1, -1
	scratch_store_b32 off, v41, s33 offset:4 ; 4-byte Folded Spill
	s_mov_b32 exec_lo, s1
	v_writelane_b32 v41, s0, 2
	s_add_i32 s32, s32, 16
	scratch_store_b32 off, v40, s33         ; 4-byte Folded Spill
	v_writelane_b32 v41, s30, 0
	v_writelane_b32 v41, s31, 1
	s_cbranch_execnz .LBB4_1452
; %bb.1:
	ds_load_b64 v[14:15], v0
	ds_load_b32 v9, v0
	flat_load_b64 v[6:7], v[2:3]
	s_mov_b32 s0, exec_lo
                                        ; implicit-def: $vgpr17_vgpr18
                                        ; implicit-def: $vgpr50_vgpr51
	s_waitcnt lgkmcnt(2)
	v_ashrrev_i32_e32 v5, 31, v15
	v_mov_b32_e32 v4, v15
	s_delay_alu instid0(VALU_DEP_1) | instskip(NEXT) | instid1(VALU_DEP_1)
	v_lshlrev_b64 v[4:5], 2, v[4:5]
	v_add_co_u32 v4, vcc_lo, v14, v4
	s_delay_alu instid0(VALU_DEP_2) | instskip(NEXT) | instid1(VALU_DEP_2)
	v_add_co_ci_u32_e32 v5, vcc_lo, v15, v5, vcc_lo
	v_add_co_u32 v4, vcc_lo, -4, v4
	s_delay_alu instid0(VALU_DEP_2) | instskip(SKIP_4) | instid1(VALU_DEP_1)
	v_add_co_ci_u32_e32 v5, vcc_lo, -1, v5, vcc_lo
	flat_load_u16 v16, v[2:3] offset:8
	flat_load_b32 v23, v[4:5]
                                        ; implicit-def: $vgpr4_vgpr5
	s_waitcnt vmcnt(2) lgkmcnt(2)
	v_dual_mov_b32 v15, v7 :: v_dual_and_b32 v8, 0xff, v6
	v_cmpx_ne_u32_e64 v8, v9
	s_xor_b32 s0, exec_lo, s0
	s_cbranch_execnz .LBB4_1454
; %bb.2:
	s_and_not1_saveexec_b32 s0, s0
	s_cbranch_execnz .LBB4_1459
.LBB4_3:
	s_or_b32 exec_lo, exec_lo, s0
	s_cbranch_execnz .LBB4_1460
.LBB4_4:
	ds_load_b64 v[6:7], v0
	s_mov_b32 s1, exec_lo
	s_waitcnt lgkmcnt(0)
	v_cmp_ne_u32_e32 vcc_lo, -1, v6
	v_cndmask_b32_e64 v22, 0, 1, vcc_lo
	v_cmp_ne_u32_e32 vcc_lo, -1, v7
	s_delay_alu instid0(VALU_DEP_2) | instskip(NEXT) | instid1(VALU_DEP_1)
	v_add_co_ci_u32_e64 v6, s0, 0, v22, vcc_lo
	v_lshlrev_b32_e32 v7, 1, v6
	s_delay_alu instid0(VALU_DEP_1)
	v_cmpx_le_i32_e64 v7, v1
	s_xor_b32 s15, exec_lo, s1
	s_cbranch_execz .LBB4_1663
; %bb.5:
	s_clause 0x1
	flat_load_b128 v[10:13], v[2:3] offset:16
	flat_load_b64 v[18:19], v[2:3] offset:104
	s_cbranch_execnz .LBB4_1462
; %bb.6:
	s_load_b32 s0, s[8:9], 0x0
	v_mov_b32_e32 v2, 0
	v_mov_b32_e32 v30, 4
	s_mov_b32 s2, exec_lo
	s_waitcnt lgkmcnt(0)
	s_cmp_lt_u32 s12, s0
	s_cselect_b32 s0, 12, 18
	s_delay_alu instid0(SALU_CYCLE_1)
	s_add_u32 s0, s8, s0
	s_addc_u32 s1, s9, 0
	global_load_u16 v24, v2, s[0:1]
	ds_load_b32 v2, v0
	s_waitcnt lgkmcnt(0)
	v_readfirstlane_b32 s1, v2
	v_cmpx_ge_i32_e64 v0, v22
	s_cbranch_execz .LBB4_16
; %bb.7:
	v_cmp_le_u32_e64 s0, v6, v0
                                        ; implicit-def: $vgpr30
	s_delay_alu instid0(VALU_DEP_1) | instskip(NEXT) | instid1(SALU_CYCLE_1)
	s_and_saveexec_b32 s3, s0
	s_xor_b32 s0, exec_lo, s3
	s_cbranch_execz .LBB4_13
; %bb.8:
	v_cndmask_b32_e64 v2, 0, 1, vcc_lo
	s_mov_b32 s3, exec_lo
                                        ; implicit-def: $sgpr4
	s_delay_alu instid0(VALU_DEP_1) | instskip(NEXT) | instid1(VALU_DEP_1)
	v_sub_nc_u32_e32 v2, v1, v2
	v_cmpx_ge_u32_e64 v0, v2
	s_xor_b32 s3, exec_lo, s3
; %bb.9:
	s_mov_b32 s4, 16
                                        ; implicit-def: $vgpr6
; %bb.10:
	s_or_saveexec_b32 s3, s3
	v_mov_b32_e32 v30, s4
	s_xor_b32 exec_lo, exec_lo, s3
; %bb.11:
	v_sub_nc_u32_e32 v2, v1, v6
	s_delay_alu instid0(VALU_DEP_1) | instskip(SKIP_1) | instid1(VALU_DEP_1)
	v_cmp_ge_i32_e32 vcc_lo, v0, v2
	v_cndmask_b32_e64 v2, 0, 1, vcc_lo
	v_lshlrev_b32_e32 v30, 5, v2
; %bb.12:
	s_or_b32 exec_lo, exec_lo, s3
.LBB4_13:
	s_and_not1_saveexec_b32 s0, s0
; %bb.14:
	v_mov_b32_e32 v30, 8
; %bb.15:
	s_or_b32 exec_lo, exec_lo, s0
.LBB4_16:
	s_delay_alu instid0(SALU_CYCLE_1) | instskip(NEXT) | instid1(VALU_DEP_1)
	s_or_b32 exec_lo, exec_lo, s2
	v_and_b32_e32 v2, 36, v30
	v_mov_b32_e32 v20, -1
	s_delay_alu instid0(VALU_DEP_2)
	v_cmp_ne_u32_e32 vcc_lo, 0, v2
	s_and_saveexec_b32 s0, vcc_lo
	s_cbranch_execz .LBB4_19
; %bb.17:
	s_cbranch_execnz .LBB4_1464
; %bb.18:
	ds_load_b32 v20, v0
.LBB4_19:
	s_or_b32 exec_lo, exec_lo, s0
	v_and_b32_e32 v2, 24, v30
	s_mov_b32 s2, exec_lo
	s_delay_alu instid0(VALU_DEP_1)
	v_cmpx_ne_u32_e32 0, v2
	s_cbranch_execz .LBB4_22
; %bb.20:
	s_cbranch_execnz .LBB4_1466
; %bb.21:
	s_waitcnt lgkmcnt(0)
	ds_load_b32 v20, v0
.LBB4_22:
	s_or_b32 exec_lo, exec_lo, s2
	s_waitcnt vmcnt(4)
	v_lshrrev_b64 v[2:3], 31, v[15:16]
	v_mov_b32_e32 v26, 0
	v_mov_b32_e32 v27, 0
                                        ; implicit-def: $vgpr81
                                        ; implicit-def: $vgpr34_vgpr35
                                        ; implicit-def: $vgpr32_vgpr33
                                        ; implicit-def: $vgpr28_vgpr29
	s_delay_alu instid0(VALU_DEP_3) | instskip(NEXT) | instid1(VALU_DEP_2)
	v_and_b32_e32 v16, 3, v2
	v_dual_mov_b32 v6, v26 :: v_dual_mov_b32 v7, v27
                                        ; implicit-def: $vgpr2_vgpr3
	s_and_saveexec_b32 s0, vcc_lo
	s_cbranch_execz .LBB4_35
; %bb.23:
	s_cbranch_execnz .LBB4_1468
; %bb.24:
	ds_load_b64 v[2:3], v0
	s_waitcnt lgkmcnt(1)
	v_ashrrev_i32_e32 v21, 31, v20
	v_and_b32_e32 v8, 0xffff, v16
	s_delay_alu instid0(VALU_DEP_2) | instskip(SKIP_1) | instid1(VALU_DEP_1)
	v_lshlrev_b64 v[6:7], 3, v[20:21]
	s_waitcnt lgkmcnt(0)
	v_add_co_u32 v2, vcc_lo, v2, v6
	s_delay_alu instid0(VALU_DEP_2)
	v_add_co_ci_u32_e32 v3, vcc_lo, v3, v7, vcc_lo
	flat_load_b64 v[2:3], v[2:3]
	s_waitcnt vmcnt(0) lgkmcnt(0)
	v_mad_u64_u32 v[6:7], null, 0xa8, v8, v[2:3]
	flat_load_b32 v2, v[6:7] offset:640
	v_add_co_u32 v26, vcc_lo, 0x1f8, v6
	v_add_co_ci_u32_e32 v27, vcc_lo, 0, v7, vcc_lo
	s_waitcnt vmcnt(0) lgkmcnt(0)
	v_cmp_eq_u32_e32 vcc_lo, 1, v2
                                        ; implicit-def: $vgpr2_vgpr3
	s_and_saveexec_b32 s2, vcc_lo
	s_cbranch_execz .LBB4_27
; %bb.25:
	flat_load_b64 v[2:3], v[26:27] offset:144
	s_waitcnt vmcnt(0) lgkmcnt(0)
	flat_load_b64 v[6:7], v[2:3]
	s_cbranch_execnz .LBB4_1474
; %bb.26:
	s_waitcnt vmcnt(0) lgkmcnt(0)
	ds_store_b64 v0, v[6:7]
	flat_load_b64 v[6:7], v[2:3] offset:8
	v_or_b32_e32 v30, 0x2000, v30
	s_waitcnt vmcnt(0) lgkmcnt(0)
	ds_store_b64 v0, v[6:7]
	flat_load_b64 v[6:7], v[2:3] offset:16
	s_waitcnt vmcnt(0) lgkmcnt(0)
	ds_store_b64 v0, v[6:7]
.LBB4_27:
	s_or_b32 exec_lo, exec_lo, s2
	flat_load_b64 v[8:9], v[26:27] offset:104
	v_and_b32_e32 v6, 32, v30
	s_mov_b32 s2, exec_lo
                                        ; implicit-def: $vgpr28_vgpr29
	s_delay_alu instid0(VALU_DEP_1)
	v_cmpx_ne_u32_e32 0, v6
	s_cbranch_execz .LBB4_29
; %bb.28:
	flat_load_b64 v[28:29], v[26:27] offset:56
	s_waitcnt vmcnt(0) lgkmcnt(0)
	s_waitcnt_vscnt null, 0x0
	flat_store_b64 v[28:29], v[8:9]
.LBB4_29:
	s_or_b32 exec_lo, exec_lo, s2
	v_dual_mov_b32 v6, 0 :: v_dual_and_b32 v21, 4, v30
	v_mov_b32_e32 v7, 0
	s_mov_b32 s2, exec_lo
                                        ; implicit-def: $vgpr81
                                        ; implicit-def: $vgpr34_vgpr35
                                        ; implicit-def: $vgpr32_vgpr33
	s_delay_alu instid0(VALU_DEP_2)
	v_cmpx_ne_u32_e32 0, v21
	s_cbranch_execz .LBB4_34
; %bb.30:
	v_and_b32_e32 v6, 0x800, v30
	s_mov_b32 s3, exec_lo
	s_delay_alu instid0(VALU_DEP_1)
	v_cmpx_eq_u32_e32 0, v6
	s_cbranch_execz .LBB4_33
; %bb.31:
	s_cbranch_execnz .LBB4_1478
; %bb.32:
	ds_store_b64 v0, v[26:27]
.LBB4_33:
	s_or_b32 exec_lo, exec_lo, s3
	flat_load_b64 v[28:29], v[26:27] offset:48
	v_or_b32_e32 v25, 0x100, v30
	s_waitcnt vmcnt(0) lgkmcnt(0)
	flat_load_b64 v[34:35], v[28:29] glc
	s_clause 0x2
	flat_load_b32 v21, v[26:27] offset:72
	flat_load_b64 v[6:7], v[26:27] offset:96
	flat_load_b64 v[32:33], v[26:27] offset:16
	s_waitcnt vmcnt(2) lgkmcnt(2)
	v_ashrrev_i32_e32 v81, 1, v21
	s_waitcnt vmcnt(1) lgkmcnt(1)
	v_cmp_eq_u64_e32 vcc_lo, 0, v[6:7]
	v_cndmask_b32_e32 v30, v25, v30, vcc_lo
.LBB4_34:
	s_or_b32 exec_lo, exec_lo, s2
.LBB4_35:
	s_delay_alu instid0(SALU_CYCLE_1) | instskip(NEXT) | instid1(VALU_DEP_1)
	s_or_b32 exec_lo, exec_lo, s0
	v_and_b32_e32 v21, 24, v30
	s_mov_b32 s0, exec_lo
                                        ; implicit-def: $vgpr48_vgpr49
	s_delay_alu instid0(VALU_DEP_1)
	v_cmpx_ne_u32_e32 0, v21
	s_cbranch_execz .LBB4_45
; %bb.36:
	s_cbranch_execnz .LBB4_1470
; %bb.37:
	ds_load_b64 v[6:7], v0
	s_waitcnt lgkmcnt(1)
	v_ashrrev_i32_e32 v21, 31, v20
	s_mov_b32 s2, exec_lo
                                        ; implicit-def: $vgpr48_vgpr49
	s_waitcnt vmcnt(0)
	s_delay_alu instid0(VALU_DEP_1) | instskip(SKIP_1) | instid1(VALU_DEP_1)
	v_lshlrev_b64 v[8:9], 3, v[20:21]
	s_waitcnt lgkmcnt(0)
	v_add_co_u32 v6, vcc_lo, v6, v8
	s_delay_alu instid0(VALU_DEP_2)
	v_add_co_ci_u32_e32 v7, vcc_lo, v7, v9, vcc_lo
	v_and_b32_e32 v8, 0xffff, v16
	v_or_b32_e32 v16, 0x100, v30
	flat_load_b64 v[6:7], v[6:7]
	s_waitcnt vmcnt(0) lgkmcnt(0)
	v_mad_u64_u32 v[26:27], null, 0xa8, v8, v[6:7]
	flat_load_b128 v[6:9], v[26:27] offset:96
	s_waitcnt vmcnt(0) lgkmcnt(0)
	v_cmp_eq_u64_e32 vcc_lo, 0, v[6:7]
	v_cndmask_b32_e32 v30, v16, v30, vcc_lo
	s_delay_alu instid0(VALU_DEP_1) | instskip(NEXT) | instid1(VALU_DEP_1)
	v_and_b32_e32 v16, 16, v30
	v_cmpx_ne_u32_e32 0, v16
; %bb.38:
	s_clause 0x2
	flat_load_b64 v[48:49], v[26:27] offset:120
	flat_load_b64 v[28:29], v[26:27] offset:48
	;; [unrolled: 1-line block ×3, first 2 shown]
; %bb.39:
	s_or_b32 exec_lo, exec_lo, s2
	v_and_b32_e32 v16, 8, v30
	s_mov_b32 s2, exec_lo
	s_delay_alu instid0(VALU_DEP_1)
	v_cmpx_ne_u32_e32 0, v16
	s_cbranch_execz .LBB4_44
; %bb.40:
	v_and_b32_e32 v16, 0x800, v30
	s_mov_b32 s3, exec_lo
	s_delay_alu instid0(VALU_DEP_1)
	v_cmpx_eq_u32_e32 0, v16
	s_cbranch_execz .LBB4_43
; %bb.41:
	s_cbranch_execnz .LBB4_1495
; %bb.42:
	ds_store_b64 v0, v[26:27]
.LBB4_43:
	s_or_b32 exec_lo, exec_lo, s3
	s_waitcnt vmcnt(1) lgkmcnt(1)
	flat_load_b64 v[28:29], v[26:27] offset:56
	s_waitcnt vmcnt(0) lgkmcnt(0)
	flat_load_b64 v[34:35], v[28:29] glc
	s_clause 0x1
	flat_load_b32 v16, v[26:27] offset:72
	flat_load_b64 v[32:33], v[26:27] offset:16
	s_waitcnt vmcnt(1) lgkmcnt(1)
	v_ashrrev_i32_e32 v81, 1, v16
.LBB4_44:
	s_or_b32 exec_lo, exec_lo, s2
.LBB4_45:
	s_delay_alu instid0(SALU_CYCLE_1) | instskip(SKIP_1) | instid1(VALU_DEP_1)
	s_or_b32 exec_lo, exec_lo, s0
	v_cmp_eq_u32_e64 s0, 0, v0
	s_and_saveexec_b32 s2, s0
	s_cbranch_execz .LBB4_48
; %bb.46:
	s_waitcnt vmcnt(2)
	ds_store_2addr_b64 v0, v[12:13], v[10:11] offset1:1
	s_cbranch_execnz .LBB4_1472
; %bb.47:
	v_mov_b32_e32 v10, 0
	s_delay_alu instid0(VALU_DEP_1)
	v_mov_b32_e32 v11, v10
	ds_store_b64 v0, v[10:11]
	s_waitcnt vmcnt(1)
	ds_store_b64 v0, v[18:19]
.LBB4_48:
	s_or_b32 exec_lo, exec_lo, s2
	s_ashr_i32 s2, s1, 31
	v_dual_mov_b32 v39, 0 :: v_dual_and_b32 v38, 0x1fffff00, v17
	s_lshr_b32 s2, s2, 29
	s_waitcnt vmcnt(2)
	v_bfe_u32 v10, v15, 1, 30
	s_waitcnt vmcnt(0)
	v_and_b32_e32 v80, 0xffff, v24
	s_add_i32 s1, s1, s2
                                        ; implicit-def: $vgpr36_vgpr37
	s_delay_alu instid0(SALU_CYCLE_1)
	s_ashr_i32 s16, s1, 4
	s_mov_b32 s1, exec_lo
	v_cmpx_ne_u32_e64 v23, v10
	s_xor_b32 s17, exec_lo, s1
	s_cbranch_execz .LBB4_1246
; %bb.49:
	v_cmp_ne_u64_e64 s1, 0, v[4:5]
                                        ; implicit-def: $vgpr36_vgpr37
	s_mov_b32 s2, exec_lo
	v_cmpx_ne_u32_e64 v14, v10
	s_xor_b32 s18, exec_lo, s2
	s_cbranch_execz .LBB4_653
; %bb.50:
	v_mov_b32_e32 v36, 0
	v_mov_b32_e32 v37, 0
	s_and_saveexec_b32 s19, s1
	s_cbranch_execz .LBB4_652
; %bb.51:
	v_cmp_ge_i32_e64 s2, v0, v1
	s_cbranch_execnz .LBB4_1493
; %bb.52:
	v_ashrrev_i32_e32 v10, 31, v0
	v_lshrrev_b32_e32 v82, 5, v1
	v_dual_mov_b32 v52, 0 :: v_dual_and_b32 v11, 31, v31
	s_lshr_b32 s5, s16, 27
	s_delay_alu instid0(VALU_DEP_3) | instskip(SKIP_1) | instid1(VALU_DEP_2)
	v_lshrrev_b32_e32 v10, 27, v10
	s_add_i32 s11, s16, s5
	v_cmp_eq_u32_e64 s5, 0, v11
	v_lshlrev_b32_e32 v86, 6, v82
	v_cmp_eq_u32_e32 vcc_lo, 32, v1
	v_dual_mov_b32 v53, 0 :: v_dual_add_nc_u32 v10, v0, v10
	v_mov_b32_e32 v54, 0
	v_lshlrev_b32_e32 v84, 9, v82
	s_delay_alu instid0(VALU_DEP_3) | instskip(NEXT) | instid1(VALU_DEP_4)
	v_mov_b32_e32 v36, v53
	v_dual_mov_b32 v103, 1 :: v_dual_and_b32 v12, 0xffffffe0, v10
	v_ashrrev_i32_e32 v83, 5, v10
	v_lshl_add_u32 v10, v82, 10, 0xfffffc00
	v_mov_b32_e32 v37, v54
	v_add_nc_u32_e32 v13, 0xfffffe00, v84
	v_sub_nc_u32_e32 v85, v0, v12
	v_lshlrev_b32_e32 v12, 10, v83
	v_ashrrev_i32_e32 v11, 31, v10
	v_add_co_u32 v96, s6, 0x400, v10
	v_ashrrev_i32_e32 v10, 31, v13
	v_add_co_u32 v99, s10, 0x200, v13
	s_delay_alu instid0(VALU_DEP_4) | instskip(SKIP_1) | instid1(VALU_DEP_4)
	v_add_co_ci_u32_e64 v97, s6, 0, v11, s6
	v_subrev_nc_u32_e32 v11, 64, v86
	v_add_co_ci_u32_e64 v100, s10, 0, v10, s10
	v_lshl_add_u32 v87, v85, 4, v12
	v_lshlrev_b64 v[64:65], 1, v[50:51]
	s_delay_alu instid0(VALU_DEP_4) | instskip(SKIP_3) | instid1(VALU_DEP_4)
	v_ashrrev_i32_e32 v10, 31, v11
	v_add_co_u32 v101, s10, v11, 64
	v_ashrrev_i32_e32 v55, 31, v81
	v_cmp_ne_u32_e64 s3, 32, v1
	v_add_co_ci_u32_e64 v102, s10, 0, v10, s10
	s_waitcnt lgkmcnt(2)
	v_cmp_eq_u64_e64 s10, 0, v[48:49]
	v_cmp_ne_u32_e64 s4, v80, v1
	v_cmp_le_i32_e64 s6, v85, v22
	v_cmp_lt_i32_e64 s7, v85, v22
	v_ashrrev_i32_e32 v98, 31, v87
	s_ashr_i32 s21, s11, 5
	s_mov_b32 s20, 0
	s_xor_b32 s22, vcc_lo, -1
.LBB4_53:                               ; =>This Loop Header: Depth=1
                                        ;     Child Loop BB4_63 Depth 2
                                        ;     Child Loop BB4_93 Depth 2
	;; [unrolled: 1-line block ×10, first 2 shown]
	v_sub_co_u32 v10, vcc_lo, v4, v53
	v_sub_co_ci_u32_e32 v11, vcc_lo, v5, v54, vcc_lo
	v_mov_b32_e32 v12, 0
	s_delay_alu instid0(VALU_DEP_2) | instskip(SKIP_2) | instid1(VALU_DEP_2)
	v_cmp_lt_u64_e32 vcc_lo, v[38:39], v[10:11]
	v_cndmask_b32_e32 v50, v10, v38, vcc_lo
	v_cndmask_b32_e64 v51, v11, 0, vcc_lo
	v_add_nc_u32_e32 v10, 15, v50
	s_delay_alu instid0(VALU_DEP_2) | instskip(NEXT) | instid1(VALU_DEP_2)
	v_cmp_eq_u64_e32 vcc_lo, 0, v[50:51]
	v_and_b32_e32 v10, 0x3ffffff0, v10
	s_or_b32 s23, s2, vcc_lo
	s_delay_alu instid0(SALU_CYCLE_1) | instskip(NEXT) | instid1(VALU_DEP_1)
	s_xor_b32 s11, s23, -1
	v_max_i32_e32 v112, s21, v10
	s_and_saveexec_b32 s24, s11
	s_cbranch_execz .LBB4_590
; %bb.54:                               ;   in Loop: Header=BB4_53 Depth=1
	s_and_saveexec_b32 s11, s0
	s_cbranch_execz .LBB4_57
; %bb.55:                               ;   in Loop: Header=BB4_53 Depth=1
	s_cbranch_execnz .LBB4_1521
; %bb.56:                               ;   in Loop: Header=BB4_53 Depth=1
	ds_load_b64 v[10:11], v0
	v_lshlrev_b64 v[12:13], 1, v[53:54]
	v_mov_b32_e32 v51, v52
	s_waitcnt lgkmcnt(0)
	v_add_co_u32 v10, vcc_lo, v10, v64
	v_add_co_ci_u32_e32 v11, vcc_lo, v11, v65, vcc_lo
	s_delay_alu instid0(VALU_DEP_2) | instskip(NEXT) | instid1(VALU_DEP_2)
	v_add_co_u32 v10, vcc_lo, v10, v12
	v_add_co_ci_u32_e32 v11, vcc_lo, v11, v13, vcc_lo
	ds_store_b64 v0, v[10:11]
	ds_store_b64 v0, v[51:52]
.LBB4_57:                               ;   in Loop: Header=BB4_53 Depth=1
	s_or_b32 exec_lo, exec_lo, s11
	v_and_b32_e32 v10, 12, v30
	s_mov_b32 s12, -1
	s_mov_b32 s11, exec_lo
	s_delay_alu instid0(VALU_DEP_1)
	v_cmpx_ne_u32_e32 0, v10
	s_cbranch_execz .LBB4_71
; %bb.58:                               ;   in Loop: Header=BB4_53 Depth=1
	v_and_b32_e32 v12, 8, v30
	s_delay_alu instid0(VALU_DEP_1) | instskip(SKIP_4) | instid1(VALU_DEP_1)
	v_add_co_u32 v13, vcc_lo, v34, v12
	v_add_co_ci_u32_e32 v14, vcc_lo, 0, v35, vcc_lo
	s_waitcnt lgkmcnt(0)
	v_add_co_u32 v10, vcc_lo, v8, 1
	v_add_co_ci_u32_e32 v11, vcc_lo, 0, v9, vcc_lo
	v_cmp_lt_u64_e32 vcc_lo, v[13:14], v[10:11]
	v_mov_b32_e32 v13, 1
	s_and_saveexec_b32 s12, vcc_lo
	s_cbranch_execz .LBB4_70
; %bb.59:                               ;   in Loop: Header=BB4_53 Depth=1
	v_mov_b32_e32 v13, 0
	s_mov_b32 s13, 0
                                        ; implicit-def: $sgpr14
	s_branch .LBB4_63
.LBB4_60:                               ;   in Loop: Header=BB4_63 Depth=2
	s_or_b32 exec_lo, exec_lo, s28
	v_mov_b32_e32 v14, 0
	s_or_not1_b32 s27, s27, exec_lo
.LBB4_61:                               ;   in Loop: Header=BB4_63 Depth=2
	s_or_b32 exec_lo, exec_lo, s26
	s_delay_alu instid0(VALU_DEP_1) | instskip(SKIP_2) | instid1(SALU_CYCLE_1)
	v_mov_b32_e32 v13, v14
	s_and_not1_b32 s14, s14, exec_lo
	s_and_b32 s26, s27, exec_lo
	s_or_b32 s14, s14, s26
.LBB4_62:                               ;   in Loop: Header=BB4_63 Depth=2
	s_or_b32 exec_lo, exec_lo, s25
	s_waitcnt vmcnt(0) lgkmcnt(0)
	v_add_co_u32 v14, vcc_lo, v34, v12
	v_add_co_ci_u32_e32 v15, vcc_lo, 0, v35, vcc_lo
	s_xor_b32 s25, s14, -1
	s_delay_alu instid0(VALU_DEP_1) | instskip(SKIP_1) | instid1(SALU_CYCLE_1)
	v_cmp_ge_u64_e32 vcc_lo, v[14:15], v[10:11]
	s_or_b32 s25, s25, vcc_lo
	s_and_b32 s25, exec_lo, s25
	s_delay_alu instid0(SALU_CYCLE_1) | instskip(NEXT) | instid1(SALU_CYCLE_1)
	s_or_b32 s13, s25, s13
	s_and_not1_b32 exec_lo, exec_lo, s13
	s_cbranch_execz .LBB4_69
.LBB4_63:                               ;   Parent Loop BB4_53 Depth=1
                                        ; =>  This Inner Loop Header: Depth=2
	s_sleep 1
	flat_load_b64 v[34:35], v[28:29] glc
	v_and_b32_e32 v14, 64, v30
	s_and_not1_b32 s14, s14, exec_lo
	s_mov_b32 s25, exec_lo
	s_delay_alu instid0(VALU_DEP_1)
	v_cmpx_eq_u32_e32 0, v14
	s_cbranch_execz .LBB4_62
; %bb.64:                               ;   in Loop: Header=BB4_63 Depth=2
	v_add_nc_u32_e32 v14, 1, v13
	s_mov_b32 s27, -1
	s_mov_b32 s26, exec_lo
	v_cmpx_lt_i32_e32 0x270e, v13
	s_cbranch_execz .LBB4_61
; %bb.65:                               ;   in Loop: Header=BB4_63 Depth=2
	s_cbranch_execnz .LBB4_1543
; %bb.66:                               ;   in Loop: Header=BB4_63 Depth=2
	ds_load_b64 v[13:14], v0
	s_mov_b32 s28, exec_lo
	s_waitcnt vmcnt(0) lgkmcnt(0)
	s_waitcnt_vscnt null, 0x0
	flat_load_b32 v13, v[13:14] glc
	s_waitcnt vmcnt(0) lgkmcnt(0)
	buffer_gl1_inv
	buffer_gl0_inv
	v_cmpx_ne_u32_e32 0, v13
	s_cbranch_execz .LBB4_60
; %bb.67:                               ;   in Loop: Header=BB4_63 Depth=2
	ds_store_b32 v0, v13
	s_cbranch_execnz .LBB4_1576
; %bb.68:                               ;   in Loop: Header=BB4_63 Depth=2
	v_or_b32_e32 v30, 64, v30
	s_xor_b32 s27, exec_lo, -1
	s_branch .LBB4_60
.LBB4_69:                               ;   in Loop: Header=BB4_53 Depth=1
	s_or_b32 exec_lo, exec_lo, s13
	v_and_b32_e32 v13, 12, v30
.LBB4_70:                               ;   in Loop: Header=BB4_53 Depth=1
	s_or_b32 exec_lo, exec_lo, s12
	s_delay_alu instid0(VALU_DEP_1)
	v_cmp_eq_u32_e32 vcc_lo, 0, v13
	;;#ASMSTART
	s_wakeup
	;;#ASMEND
	s_or_not1_b32 s12, vcc_lo, exec_lo
.LBB4_71:                               ;   in Loop: Header=BB4_53 Depth=1
	s_or_b32 exec_lo, exec_lo, s11
	v_min_u32_e32 v112, v112, v50
	s_xor_b32 s11, s12, -1
	s_delay_alu instid0(SALU_CYCLE_1)
	s_and_saveexec_b32 s12, s11
	s_cbranch_execz .LBB4_84
; %bb.72:                               ;   in Loop: Header=BB4_53 Depth=1
	v_and_b32_e32 v10, 0x108, v30
	s_waitcnt lgkmcnt(0)
	v_and_b32_e32 v14, 7, v8
	s_mov_b32 s11, exec_lo
	s_delay_alu instid0(VALU_DEP_2) | instskip(SKIP_1) | instid1(SALU_CYCLE_1)
	v_cmpx_ne_u32_e32 0x108, v10
	s_xor_b32 s11, exec_lo, s11
	s_and_not1_saveexec_b32 s11, s11
	s_cbranch_execz .LBB4_74
; %bb.73:                               ;   in Loop: Header=BB4_53 Depth=1
	v_mad_u64_u32 v[10:11], null, v14, 24, v[6:7]
	v_dual_mov_b32 v13, v52 :: v_dual_lshlrev_b32 v12, 1, v112
	flat_store_b64 v[10:11], v[12:13] offset:8
.LBB4_74:                               ;   in Loop: Header=BB4_53 Depth=1
	s_or_b32 exec_lo, exec_lo, s11
	v_and_b32_e32 v10, 0x100, v30
	s_mov_b32 s11, -1
	s_delay_alu instid0(VALU_DEP_1)
	v_cmp_ne_u32_e32 vcc_lo, 0, v10
                                        ; implicit-def: $vgpr10_vgpr11
	s_and_saveexec_b32 s13, vcc_lo
	s_cbranch_execnz .LBB4_77
; %bb.75:                               ;   in Loop: Header=BB4_53 Depth=1
	s_or_b32 exec_lo, exec_lo, s13
	s_and_saveexec_b32 s13, s11
	s_cbranch_execnz .LBB4_80
.LBB4_76:                               ;   in Loop: Header=BB4_53 Depth=1
	s_or_b32 exec_lo, exec_lo, s13
	s_cbranch_execnz .LBB4_1537
	s_branch .LBB4_81
.LBB4_77:                               ;   in Loop: Header=BB4_53 Depth=1
	v_mad_u64_u32 v[12:13], null, v14, 24, v[6:7]
	s_delay_alu instid0(VALU_DEP_1) | instskip(NEXT) | instid1(VALU_DEP_1)
	v_mov_b32_e32 v10, v13
	v_mad_u64_u32 v[15:16], null, v52, 24, v[10:11]
	s_delay_alu instid0(VALU_DEP_1) | instskip(SKIP_4) | instid1(VALU_DEP_1)
	v_mov_b32_e32 v13, v15
	flat_load_b32 v10, v[12:13]
	s_waitcnt vmcnt(0) lgkmcnt(0)
	v_cmp_ne_u32_e32 vcc_lo, 1, v10
	v_cmp_eq_u32_e64 s11, 1, v10
                                        ; implicit-def: $vgpr10_vgpr11
	s_and_saveexec_b32 s14, s11
	s_cbranch_execz .LBB4_79
; %bb.78:                               ;   in Loop: Header=BB4_53 Depth=1
	flat_load_b32 v10, v[12:13] offset:4 glc
	s_waitcnt vmcnt(0) lgkmcnt(0)
	v_ashrrev_i32_e32 v11, 31, v10
	s_delay_alu instid0(VALU_DEP_1)
	v_lshrrev_b64 v[10:11], 1, v[10:11]
.LBB4_79:                               ;   in Loop: Header=BB4_53 Depth=1
	s_or_b32 exec_lo, exec_lo, s14
	s_delay_alu instid0(SALU_CYCLE_1)
	s_or_not1_b32 s11, vcc_lo, exec_lo
	s_or_b32 exec_lo, exec_lo, s13
	s_and_saveexec_b32 s13, s11
	s_cbranch_execz .LBB4_76
.LBB4_80:                               ;   in Loop: Header=BB4_53 Depth=1
	v_mul_lo_u32 v12, v52, v81
	v_mul_lo_u32 v13, v14, v55
	v_mad_u64_u32 v[10:11], null, v14, v81, 0
	s_delay_alu instid0(VALU_DEP_1)
	v_add3_u32 v11, v11, v13, v12
	s_or_b32 exec_lo, exec_lo, s13
	s_cbranch_execnz .LBB4_1537
.LBB4_81:                               ;   in Loop: Header=BB4_53 Depth=1
	s_delay_alu instid0(VALU_DEP_1) | instskip(SKIP_2) | instid1(VALU_DEP_2)
	v_lshlrev_b64 v[10:11], 1, v[10:11]
	v_and_b32_e32 v12, 0x2000, v30
	s_mov_b32 s11, exec_lo
	v_add_co_u32 v10, vcc_lo, v32, v10
	s_delay_alu instid0(VALU_DEP_3)
	v_add_co_ci_u32_e32 v11, vcc_lo, v33, v11, vcc_lo
	ds_store_b64 v0, v[10:11]
	v_cmpx_ne_u32_e32 0, v12
	s_cbranch_execz .LBB4_83
; %bb.82:                               ;   in Loop: Header=BB4_53 Depth=1
	ds_load_b64 v[10:11], v0 offset:584
	s_waitcnt lgkmcnt(0)
	v_add_co_u32 v10, vcc_lo, v10, 1
	v_add_co_ci_u32_e32 v11, vcc_lo, 0, v11, vcc_lo
	ds_store_b64 v0, v[10:11] offset:584
.LBB4_83:                               ;   in Loop: Header=BB4_53 Depth=1
	s_or_b32 exec_lo, exec_lo, s11
	v_add_co_u32 v8, vcc_lo, v8, 1
	v_add_co_ci_u32_e32 v9, vcc_lo, 0, v9, vcc_lo
.LBB4_84:                               ;   in Loop: Header=BB4_53 Depth=1
	s_or_b32 exec_lo, exec_lo, s12
	s_and_saveexec_b32 s11, s3
	s_cbranch_execz .LBB4_106
; %bb.85:                               ;   in Loop: Header=BB4_53 Depth=1
	s_and_saveexec_b32 s12, s4
	s_delay_alu instid0(SALU_CYCLE_1)
	s_xor_b32 s12, exec_lo, s12
	s_cbranch_execz .LBB4_103
; %bb.86:                               ;   in Loop: Header=BB4_53 Depth=1
	s_and_saveexec_b32 s13, s5
	s_cbranch_execz .LBB4_102
; %bb.87:                               ;   in Loop: Header=BB4_53 Depth=1
	s_mov_b32 s25, exec_lo
	s_mov_b32 s14, exec_lo
	v_mbcnt_lo_u32_b32 v10, s25, 0
	s_waitcnt lgkmcnt(0)
	s_waitcnt_vscnt null, 0x0
	buffer_gl1_inv
	buffer_gl0_inv
	v_cmpx_eq_u32_e32 0, v10
	s_cbranch_execz .LBB4_89
; %bb.88:                               ;   in Loop: Header=BB4_53 Depth=1
	s_bcnt1_i32_b32 s25, s25
	s_delay_alu instid0(SALU_CYCLE_1)
	v_mov_b32_e32 v51, s25
	ds_add_u64 v0, v[51:52]
	s_cbranch_execnz .LBB4_1606
.LBB4_89:                               ;   in Loop: Header=BB4_53 Depth=1
	s_or_b32 exec_lo, exec_lo, s14
	s_cbranch_execnz .LBB4_1594
; %bb.90:                               ;   in Loop: Header=BB4_53 Depth=1
	ds_load_b64 v[10:11], v0
	v_add_co_u32 v36, vcc_lo, v36, v82
	v_add_co_ci_u32_e32 v37, vcc_lo, 0, v37, vcc_lo
	s_mov_b32 s14, exec_lo
	s_waitcnt lgkmcnt(0)
	s_delay_alu instid0(VALU_DEP_1)
	v_cmpx_lt_u64_e64 v[10:11], v[36:37]
	s_cbranch_execz .LBB4_101
; %bb.91:                               ;   in Loop: Header=BB4_53 Depth=1
	s_mov_b32 s25, 0
	s_mov_b32 s28, 0
                                        ; implicit-def: $sgpr26
                                        ; implicit-def: $sgpr27
	s_branch .LBB4_93
.LBB4_92:                               ;   in Loop: Header=BB4_93 Depth=2
	s_or_b32 exec_lo, exec_lo, vcc_hi
	s_delay_alu instid0(SALU_CYCLE_1) | instskip(NEXT) | instid1(SALU_CYCLE_1)
	s_and_b32 s29, exec_lo, vcc_lo
	s_or_b32 s25, s29, s25
	s_and_not1_b32 s26, s26, exec_lo
	s_and_b32 s29, s27, exec_lo
	s_delay_alu instid0(SALU_CYCLE_1)
	s_or_b32 s26, s26, s29
	s_and_not1_b32 exec_lo, exec_lo, s25
	s_cbranch_execz .LBB4_99
.LBB4_93:                               ;   Parent Loop BB4_53 Depth=1
                                        ; =>  This Inner Loop Header: Depth=2
	s_add_i32 s28, s28, 1
                                        ; implicit-def: $vcc_hi
	s_delay_alu instid0(SALU_CYCLE_1) | instskip(SKIP_1) | instid1(SALU_CYCLE_1)
	s_cmpk_lg_i32 s28, 0x2710
	s_cselect_b32 s29, -1, 0
	s_and_b32 vcc_lo, exec_lo, s29
	s_cbranch_vccz .LBB4_97
.LBB4_94:                               ;   in Loop: Header=BB4_93 Depth=2
	s_and_not1_b32 s27, s27, exec_lo
	s_and_b32 vcc_hi, vcc_hi, exec_lo
	s_mov_b32 vcc_lo, -1
	s_or_b32 s27, s27, vcc_hi
	s_and_saveexec_b32 vcc_hi, s29
	s_cbranch_execz .LBB4_92
; %bb.95:                               ;   in Loop: Header=BB4_93 Depth=2
	s_sleep 1
	s_cbranch_execnz .LBB4_1638
; %bb.96:                               ;   in Loop: Header=BB4_93 Depth=2
	ds_load_b64 v[10:11], v0
	s_and_not1_b32 s27, s27, exec_lo
	s_waitcnt lgkmcnt(0)
	v_cmp_ge_u64_e32 vcc_lo, v[10:11], v[36:37]
	s_or_not1_b32 vcc_lo, vcc_lo, exec_lo
	s_branch .LBB4_92
.LBB4_97:                               ;   in Loop: Header=BB4_93 Depth=2
	s_cbranch_execnz .LBB4_1646
; %bb.98:                               ;   in Loop: Header=BB4_93 Depth=2
	ds_load_b64 v[10:11], v0
	s_and_not1_b32 s29, s29, exec_lo
	s_mov_b32 s28, 0
	s_waitcnt lgkmcnt(0)
	flat_load_b32 v10, v[10:11] glc
	s_waitcnt vmcnt(0) lgkmcnt(0)
	buffer_gl1_inv
	buffer_gl0_inv
	v_cmp_eq_u32_e32 vcc_lo, 0, v10
	s_mov_b32 vcc_hi, -1
	s_and_b32 vcc_lo, vcc_lo, exec_lo
	s_delay_alu instid0(SALU_CYCLE_1)
	s_or_b32 s29, s29, vcc_lo
	s_branch .LBB4_94
.LBB4_99:                               ;   in Loop: Header=BB4_53 Depth=1
	s_or_b32 exec_lo, exec_lo, s25
	s_and_saveexec_b32 s25, s26
	s_delay_alu instid0(SALU_CYCLE_1)
	s_xor_b32 s25, exec_lo, s25
	s_cbranch_execz .LBB4_101
; %bb.100:                              ;   in Loop: Header=BB4_53 Depth=1
	ds_store_b32 v0, v103
	s_cbranch_execnz .LBB4_1724
.LBB4_101:                              ;   in Loop: Header=BB4_53 Depth=1
	s_or_b32 exec_lo, exec_lo, s14
	;;#ASMSTART
	s_wakeup
	;;#ASMEND
.LBB4_102:                              ;   in Loop: Header=BB4_53 Depth=1
	s_or_b32 exec_lo, exec_lo, s13
.LBB4_103:                              ;   in Loop: Header=BB4_53 Depth=1
	s_and_not1_saveexec_b32 s12, s12
	s_cbranch_execz .LBB4_105
; %bb.104:                              ;   in Loop: Header=BB4_53 Depth=1
	s_waitcnt lgkmcnt(0)
	s_waitcnt_vscnt null, 0x0
	buffer_gl1_inv
	buffer_gl0_inv
	s_barrier
.LBB4_105:                              ;   in Loop: Header=BB4_53 Depth=1
	s_or_b32 exec_lo, exec_lo, s12
.LBB4_106:                              ;   in Loop: Header=BB4_53 Depth=1
	s_delay_alu instid0(SALU_CYCLE_1)
	s_or_b32 exec_lo, exec_lo, s11
	s_cbranch_execnz .LBB4_1527
; %bb.107:                              ;   in Loop: Header=BB4_53 Depth=1
	ds_load_b32 v10, v0
	v_and_b32_e32 v11, 0x4000, v30
	s_delay_alu instid0(VALU_DEP_1) | instskip(SKIP_1) | instid1(SALU_CYCLE_1)
	v_cmp_ne_u32_e32 vcc_lo, 0, v11
	s_and_b32 s12, s22, vcc_lo
	s_and_saveexec_b32 s11, s12
	s_cbranch_execz .LBB4_129
; %bb.108:                              ;   in Loop: Header=BB4_53 Depth=1
	s_and_saveexec_b32 s12, s4
	s_delay_alu instid0(SALU_CYCLE_1)
	s_xor_b32 s12, exec_lo, s12
	s_cbranch_execz .LBB4_126
; %bb.109:                              ;   in Loop: Header=BB4_53 Depth=1
	s_and_saveexec_b32 s13, s5
	s_cbranch_execz .LBB4_125
; %bb.110:                              ;   in Loop: Header=BB4_53 Depth=1
	s_mov_b32 s25, exec_lo
	s_mov_b32 s14, exec_lo
	v_mbcnt_lo_u32_b32 v11, s25, 0
	s_waitcnt lgkmcnt(0)
	s_waitcnt_vscnt null, 0x0
	buffer_gl1_inv
	buffer_gl0_inv
	v_cmpx_eq_u32_e32 0, v11
	s_cbranch_execz .LBB4_112
; %bb.111:                              ;   in Loop: Header=BB4_53 Depth=1
	s_bcnt1_i32_b32 s25, s25
	s_delay_alu instid0(SALU_CYCLE_1)
	v_mov_b32_e32 v51, s25
	ds_add_u64 v0, v[51:52]
	s_cbranch_execnz .LBB4_1634
.LBB4_112:                              ;   in Loop: Header=BB4_53 Depth=1
	s_or_b32 exec_lo, exec_lo, s14
	s_cbranch_execnz .LBB4_1622
; %bb.113:                              ;   in Loop: Header=BB4_53 Depth=1
	ds_load_b64 v[11:12], v0
	v_add_co_u32 v36, vcc_lo, v36, v82
	v_add_co_ci_u32_e32 v37, vcc_lo, 0, v37, vcc_lo
	s_mov_b32 s14, exec_lo
	s_waitcnt lgkmcnt(0)
	s_delay_alu instid0(VALU_DEP_1)
	v_cmpx_lt_u64_e64 v[11:12], v[36:37]
	s_cbranch_execz .LBB4_124
; %bb.114:                              ;   in Loop: Header=BB4_53 Depth=1
	s_mov_b32 s25, 0
	s_mov_b32 s28, 0
                                        ; implicit-def: $sgpr26
                                        ; implicit-def: $sgpr27
	s_branch .LBB4_116
.LBB4_115:                              ;   in Loop: Header=BB4_116 Depth=2
	s_or_b32 exec_lo, exec_lo, vcc_hi
	s_delay_alu instid0(SALU_CYCLE_1) | instskip(NEXT) | instid1(SALU_CYCLE_1)
	s_and_b32 s29, exec_lo, vcc_lo
	s_or_b32 s25, s29, s25
	s_and_not1_b32 s26, s26, exec_lo
	s_and_b32 s29, s27, exec_lo
	s_delay_alu instid0(SALU_CYCLE_1)
	s_or_b32 s26, s26, s29
	s_and_not1_b32 exec_lo, exec_lo, s25
	s_cbranch_execz .LBB4_122
.LBB4_116:                              ;   Parent Loop BB4_53 Depth=1
                                        ; =>  This Inner Loop Header: Depth=2
	s_add_i32 s28, s28, 1
                                        ; implicit-def: $vcc_hi
	s_delay_alu instid0(SALU_CYCLE_1) | instskip(SKIP_1) | instid1(SALU_CYCLE_1)
	s_cmpk_lg_i32 s28, 0x2710
	s_cselect_b32 s29, -1, 0
	s_and_b32 vcc_lo, exec_lo, s29
	s_cbranch_vccz .LBB4_120
.LBB4_117:                              ;   in Loop: Header=BB4_116 Depth=2
	s_and_not1_b32 s27, s27, exec_lo
	s_and_b32 vcc_hi, vcc_hi, exec_lo
	s_mov_b32 vcc_lo, -1
	s_or_b32 s27, s27, vcc_hi
	s_and_saveexec_b32 vcc_hi, s29
	s_cbranch_execz .LBB4_115
; %bb.118:                              ;   in Loop: Header=BB4_116 Depth=2
	s_sleep 1
	s_cbranch_execnz .LBB4_1680
; %bb.119:                              ;   in Loop: Header=BB4_116 Depth=2
	ds_load_b64 v[11:12], v0
	s_and_not1_b32 s27, s27, exec_lo
	s_waitcnt lgkmcnt(0)
	v_cmp_ge_u64_e32 vcc_lo, v[11:12], v[36:37]
	s_or_not1_b32 vcc_lo, vcc_lo, exec_lo
	s_branch .LBB4_115
.LBB4_120:                              ;   in Loop: Header=BB4_116 Depth=2
	s_cbranch_execnz .LBB4_1694
; %bb.121:                              ;   in Loop: Header=BB4_116 Depth=2
	ds_load_b64 v[11:12], v0
	s_and_not1_b32 s29, s29, exec_lo
	s_mov_b32 s28, 0
	s_waitcnt lgkmcnt(0)
	flat_load_b32 v11, v[11:12] glc
	s_waitcnt vmcnt(0) lgkmcnt(0)
	buffer_gl1_inv
	buffer_gl0_inv
	v_cmp_eq_u32_e32 vcc_lo, 0, v11
	s_mov_b32 vcc_hi, -1
	s_and_b32 vcc_lo, vcc_lo, exec_lo
	s_delay_alu instid0(SALU_CYCLE_1)
	s_or_b32 s29, s29, vcc_lo
	s_branch .LBB4_117
.LBB4_122:                              ;   in Loop: Header=BB4_53 Depth=1
	s_or_b32 exec_lo, exec_lo, s25
	s_and_saveexec_b32 s25, s26
	s_delay_alu instid0(SALU_CYCLE_1)
	s_xor_b32 s25, exec_lo, s25
	s_cbranch_execz .LBB4_124
; %bb.123:                              ;   in Loop: Header=BB4_53 Depth=1
	ds_store_b32 v0, v103
	s_cbranch_execnz .LBB4_1734
.LBB4_124:                              ;   in Loop: Header=BB4_53 Depth=1
	s_or_b32 exec_lo, exec_lo, s14
	;;#ASMSTART
	s_wakeup
	;;#ASMEND
.LBB4_125:                              ;   in Loop: Header=BB4_53 Depth=1
	s_or_b32 exec_lo, exec_lo, s13
.LBB4_126:                              ;   in Loop: Header=BB4_53 Depth=1
	s_and_not1_saveexec_b32 s12, s12
	s_cbranch_execz .LBB4_128
; %bb.127:                              ;   in Loop: Header=BB4_53 Depth=1
	s_waitcnt lgkmcnt(0)
	s_waitcnt_vscnt null, 0x0
	buffer_gl1_inv
	buffer_gl0_inv
	s_barrier
.LBB4_128:                              ;   in Loop: Header=BB4_53 Depth=1
	s_or_b32 exec_lo, exec_lo, s12
.LBB4_129:                              ;   in Loop: Header=BB4_53 Depth=1
	s_delay_alu instid0(SALU_CYCLE_1)
	s_or_b32 exec_lo, exec_lo, s11
	s_cbranch_execnz .LBB4_1562
; %bb.130:                              ;   in Loop: Header=BB4_53 Depth=1
	ds_load_b64 v[11:12], v0
	s_waitcnt lgkmcnt(0)
	v_cmp_eq_u64_e32 vcc_lo, 0, v[11:12]
	s_or_b32 s11, vcc_lo, vcc_lo
	s_delay_alu instid0(SALU_CYCLE_1)
	s_and_b32 vcc_lo, exec_lo, s11
	s_mov_b32 s11, 0
	s_cbranch_vccnz .LBB4_561
; %bb.131:                              ;   in Loop: Header=BB4_53 Depth=1
	s_cbranch_execnz .LBB4_1588
; %bb.132:                              ;   in Loop: Header=BB4_53 Depth=1
	ds_load_b64 v[11:12], v0
	s_mov_b32 s11, -1
	s_waitcnt lgkmcnt(0)
	v_readfirstlane_b32 s25, v11
	s_and_saveexec_b32 s12, s6
	s_cbranch_execz .LBB4_134
; %bb.133:                              ;   in Loop: Header=BB4_53 Depth=1
	ds_load_b32 v11, v0 offset:720
	s_waitcnt lgkmcnt(0)
	v_and_b32_e32 v11, 15, v11
	s_delay_alu instid0(VALU_DEP_1)
	v_cmp_eq_u32_e32 vcc_lo, 0, v11
	s_or_not1_b32 s11, vcc_lo, exec_lo
.LBB4_134:                              ;   in Loop: Header=BB4_53 Depth=1
	s_or_b32 exec_lo, exec_lo, s12
	s_and_saveexec_b32 s12, s7
	s_cbranch_execz .LBB4_136
; %bb.135:                              ;   in Loop: Header=BB4_53 Depth=1
	ds_load_b32 v11, v0 offset:784
	s_waitcnt lgkmcnt(0)
	v_and_b32_e32 v11, 15, v11
	s_delay_alu instid0(VALU_DEP_1) | instskip(SKIP_3) | instid1(SALU_CYCLE_1)
	v_cmp_eq_u32_e32 vcc_lo, 0, v11
	s_and_b32 s13, s11, vcc_lo
	s_and_not1_b32 s11, s11, exec_lo
	s_and_b32 s13, s13, exec_lo
	s_or_b32 s11, s11, s13
.LBB4_136:                              ;   in Loop: Header=BB4_53 Depth=1
	s_or_b32 exec_lo, exec_lo, s12
	v_cmp_eq_u32_e32 vcc_lo, 0, v10
	s_xor_b32 s11, s11, -1
	v_mov_b32_e32 v16, 0
	v_cndmask_b32_e64 v11, 0, 1, s11
	;;#ASMSTART
	;;#ASMEND
	v_cndmask_b32_e32 v51, 0, v112, vcc_lo
	s_delay_alu instid0(VALU_DEP_2) | instskip(SKIP_1) | instid1(VALU_DEP_2)
	v_cmp_ne_u32_e32 vcc_lo, 0, v11
	s_mov_b32 s11, -1
	v_lshlrev_b32_e32 v113, 1, v51
	s_cbranch_vccz .LBB4_138
; %bb.137:                              ;   in Loop: Header=BB4_53 Depth=1
	v_dual_mov_b32 v17, v0 :: v_dual_mov_b32 v10, v83
	s_branch .LBB4_441
.LBB4_138:                              ;   in Loop: Header=BB4_53 Depth=1
	v_lshrrev_b32_e32 v115, 9, v51
	s_mov_b32 s14, exec_lo
	s_delay_alu instid0(VALU_DEP_1) | instskip(NEXT) | instid1(VALU_DEP_1)
	v_sub_nc_u32_e32 v114, v115, v83
	v_cmpx_lt_i32_e32 0, v114
	s_cbranch_execz .LBB4_335
; %bb.139:                              ;   in Loop: Header=BB4_53 Depth=1
	s_cbranch_execnz .LBB4_1688
; %bb.140:                              ;   in Loop: Header=BB4_53 Depth=1
	ds_load_b128 v[10:13], v0
	ds_load_b64 v[14:15], v0
	s_bitcmp1_b32 s25, 0
	s_mov_b32 s26, 0
	s_cselect_b32 s27, -1, 0
	s_waitcnt lgkmcnt(1)
	v_add_co_u32 v66, vcc_lo, v10, v87
	v_add_co_ci_u32_e32 v67, vcc_lo, v11, v98, vcc_lo
	v_add_co_u32 v68, vcc_lo, v12, v87
	v_add_co_ci_u32_e32 v69, vcc_lo, v13, v98, vcc_lo
	s_waitcnt lgkmcnt(0)
	v_add_co_u32 v70, vcc_lo, v14, v87
	v_add_co_ci_u32_e32 v71, vcc_lo, v15, v98, vcc_lo
	s_branch .LBB4_144
.LBB4_141:                              ;   in Loop: Header=BB4_144 Depth=2
	s_or_b32 exec_lo, exec_lo, s28
	s_delay_alu instid0(VALU_DEP_1)
	v_mov_b32_e32 v119, v117
.LBB4_142:                              ;   in Loop: Header=BB4_144 Depth=2
	s_or_b32 exec_lo, exec_lo, s13
	s_delay_alu instid0(VALU_DEP_1)
	v_mov_b32_e32 v16, v119
.LBB4_143:                              ;   in Loop: Header=BB4_144 Depth=2
	v_lshlrev_b32_e32 v13, 16, v18
	v_and_b32_e32 v18, 0xffff, v116
	v_lshlrev_b32_e32 v21, 16, v21
	v_and_b32_e32 v20, 0xffff, v20
	;; [unrolled: 2-line block ×3, first 2 shown]
	v_or_b32_e32 v13, v13, v18
	v_lshlrev_b32_e32 v10, 16, v10
	v_or3_b32 v21, v21, v20, 0
	v_and_b32_e32 v20, 0xffff, v25
	v_lshlrev_b32_e32 v12, 16, v12
	v_and_b32_e32 v15, 0xffff, v15
	v_lshlrev_b32_e32 v22, 16, v22
	v_and_b32_e32 v19, 0xffff, v19
	v_or3_b32 v18, 0, 0, v13
	v_or_b32_e32 v13, v24, v23
	v_lshlrev_b32_e32 v14, 16, v14
	v_and_b32_e32 v11, 0xffff, v11
	v_or_b32_e32 v10, v10, v20
	v_lshlrev_b32_e32 v16, 16, v16
	v_and_b32_e32 v17, 0xffff, v17
	v_or_b32_e32 v12, v12, v15
	v_add_co_u32 v66, vcc_lo, v66, v96
	v_or3_b32 v19, v22, v19, 0
	v_or3_b32 v20, 0, 0, v13
	v_sub_nc_u32_e32 v114, v114, v82
	v_or3_b32 v11, v14, v11, 0
	v_or3_b32 v10, 0, 0, v10
	;; [unrolled: 1-line block ×4, first 2 shown]
	v_add_co_ci_u32_e32 v67, vcc_lo, v67, v97, vcc_lo
	v_add_co_u32 v68, vcc_lo, v68, v96
	v_add_co_ci_u32_e32 v69, vcc_lo, v69, v97, vcc_lo
	s_clause 0x1
	global_store_b128 v[70:71], v[18:21], off glc slc dlc
	global_store_b128 v[70:71], v[10:13], off offset:512 glc slc dlc
	v_cmp_gt_i32_e32 vcc_lo, 1, v114
	v_add_co_u32 v70, s11, v70, v96
	s_delay_alu instid0(VALU_DEP_1) | instskip(SKIP_1) | instid1(SALU_CYCLE_1)
	v_add_co_ci_u32_e64 v71, s11, v71, v97, s11
	s_or_b32 s26, vcc_lo, s26
	s_and_not1_b32 exec_lo, exec_lo, s26
	s_cbranch_execz .LBB4_334
.LBB4_144:                              ;   Parent Loop BB4_53 Depth=1
                                        ; =>  This Inner Loop Header: Depth=2
	global_load_b128 v[22:25], v[66:67], off slc dlc
	global_load_b128 v[18:21], v[68:69], off slc dlc
	global_load_b128 v[14:17], v[66:67], off offset:512 slc dlc
	global_load_b128 v[10:13], v[68:69], off offset:512 slc dlc
	s_mov_b32 s13, -1
	s_and_b32 vcc_lo, exec_lo, s27
	s_waitcnt vmcnt(3)
	v_and_b32_e32 v116, 0x7fff, v22
	s_waitcnt vmcnt(2)
	v_and_b32_e32 v117, 0x7fff, v18
	v_perm_b32 v118, v18, v22, 0x5040100
	s_delay_alu instid0(VALU_DEP_3) | instskip(NEXT) | instid1(VALU_DEP_3)
	v_cmp_lt_u16_e64 s11, 0x7c00, v116
	v_cmp_gt_u16_e64 s12, 0x7c01, v117
                                        ; implicit-def: $vgpr116
	s_delay_alu instid0(VALU_DEP_1) | instskip(NEXT) | instid1(SALU_CYCLE_1)
	s_and_b32 s28, s11, s12
	s_xor_b32 s28, s28, -1
	s_cbranch_vccz .LBB4_150
; %bb.145:                              ;   in Loop: Header=BB4_144 Depth=2
	v_mov_b32_e32 v116, v18
	s_and_saveexec_b32 s29, s28
	s_cbranch_execz .LBB4_149
; %bb.146:                              ;   in Loop: Header=BB4_144 Depth=2
	v_mov_b32_e32 v116, v22
	s_or_b32 s13, s11, s12
	s_delay_alu instid0(SALU_CYCLE_1)
	s_and_saveexec_b32 vcc_hi, s13
; %bb.147:                              ;   in Loop: Header=BB4_144 Depth=2
	v_lshrrev_b32_e32 v116, 16, v118
	v_cmp_lt_u16_e32 vcc_lo, 0x7c00, v117
	s_delay_alu instid0(VALU_DEP_2) | instskip(NEXT) | instid1(VALU_DEP_1)
	v_cmp_gt_f16_e64 s13, v118, v116
	v_cndmask_b32_e64 v116, v116, v118, s13
	s_and_b32 s13, s11, vcc_lo
	s_delay_alu instid0(VALU_DEP_1) | instid1(SALU_CYCLE_1)
	v_cndmask_b32_e64 v116, v116, 0x7fff, s13
; %bb.148:                              ;   in Loop: Header=BB4_144 Depth=2
	s_or_b32 exec_lo, exec_lo, vcc_hi
.LBB4_149:                              ;   in Loop: Header=BB4_144 Depth=2
	s_delay_alu instid0(SALU_CYCLE_1)
	s_or_b32 exec_lo, exec_lo, s29
	s_mov_b32 s13, 0
.LBB4_150:                              ;   in Loop: Header=BB4_144 Depth=2
	s_delay_alu instid0(SALU_CYCLE_1)
	s_and_not1_b32 vcc_lo, exec_lo, s13
	s_cbranch_vccnz .LBB4_156
; %bb.151:                              ;   in Loop: Header=BB4_144 Depth=2
	v_mov_b32_e32 v116, v18
	s_and_saveexec_b32 s13, s28
	s_cbranch_execz .LBB4_155
; %bb.152:                              ;   in Loop: Header=BB4_144 Depth=2
	v_mov_b32_e32 v116, v22
	s_or_b32 s12, s11, s12
	s_delay_alu instid0(SALU_CYCLE_1)
	s_and_saveexec_b32 s28, s12
; %bb.153:                              ;   in Loop: Header=BB4_144 Depth=2
	v_lshrrev_b32_e32 v116, 16, v118
	v_cmp_lt_u16_e32 vcc_lo, 0x7c00, v117
	s_delay_alu instid0(VALU_DEP_2) | instskip(SKIP_1) | instid1(VALU_DEP_1)
	v_cmp_gt_f16_e64 s12, v118, v116
	s_and_b32 s11, s11, vcc_lo
	v_cndmask_b32_e64 v116, v118, v116, s12
	s_delay_alu instid0(VALU_DEP_1)
	v_cndmask_b32_e64 v116, v116, 0x7fff, s11
; %bb.154:                              ;   in Loop: Header=BB4_144 Depth=2
	s_or_b32 exec_lo, exec_lo, s28
.LBB4_155:                              ;   in Loop: Header=BB4_144 Depth=2
	s_delay_alu instid0(SALU_CYCLE_1)
	s_or_b32 exec_lo, exec_lo, s13
.LBB4_156:                              ;   in Loop: Header=BB4_144 Depth=2
	v_mov_b32_e32 v128, v22
	v_mov_b32_e32 v22, v23
	v_mov_b32_e32 v23, v19
	s_mov_b32 s13, -1
	s_and_b32 vcc_lo, exec_lo, s27
	v_lshrrev_b32_e32 v117, 16, v128
	s_delay_alu instid0(VALU_DEP_1) | instskip(NEXT) | instid1(VALU_DEP_1)
	v_dual_mov_b32 v129, v18 :: v_dual_and_b32 v18, 0x7fff, v117
	v_lshrrev_b32_e32 v119, 16, v129
	v_perm_b32 v19, v129, v128, 0x7060302
	s_delay_alu instid0(VALU_DEP_3) | instskip(NEXT) | instid1(VALU_DEP_3)
	v_cmp_lt_u16_e64 s11, 0x7c00, v18
	v_and_b32_e32 v118, 0x7fff, v119
                                        ; implicit-def: $vgpr18
	s_delay_alu instid0(VALU_DEP_1) | instskip(NEXT) | instid1(VALU_DEP_1)
	v_cmp_gt_u16_e64 s12, 0x7c01, v118
	s_and_b32 s28, s11, s12
	s_delay_alu instid0(SALU_CYCLE_1)
	s_xor_b32 s28, s28, -1
	s_cbranch_vccz .LBB4_162
; %bb.157:                              ;   in Loop: Header=BB4_144 Depth=2
	v_mov_b32_e32 v18, v119
	s_and_saveexec_b32 s29, s28
	s_cbranch_execz .LBB4_161
; %bb.158:                              ;   in Loop: Header=BB4_144 Depth=2
	v_mov_b32_e32 v18, v117
	s_or_b32 s13, s11, s12
	s_delay_alu instid0(SALU_CYCLE_1)
	s_and_saveexec_b32 vcc_hi, s13
; %bb.159:                              ;   in Loop: Header=BB4_144 Depth=2
	v_lshrrev_b32_e32 v18, 16, v19
	v_cmp_lt_u16_e32 vcc_lo, 0x7c00, v118
	s_delay_alu instid0(VALU_DEP_2) | instskip(NEXT) | instid1(VALU_DEP_1)
	v_cmp_gt_f16_e64 s13, v19, v18
	v_cndmask_b32_e64 v18, v18, v19, s13
	s_and_b32 s13, s11, vcc_lo
	s_delay_alu instid0(VALU_DEP_1) | instid1(SALU_CYCLE_1)
	v_cndmask_b32_e64 v18, v18, 0x7fff, s13
; %bb.160:                              ;   in Loop: Header=BB4_144 Depth=2
	s_or_b32 exec_lo, exec_lo, vcc_hi
.LBB4_161:                              ;   in Loop: Header=BB4_144 Depth=2
	s_delay_alu instid0(SALU_CYCLE_1)
	s_or_b32 exec_lo, exec_lo, s29
	s_mov_b32 s13, 0
.LBB4_162:                              ;   in Loop: Header=BB4_144 Depth=2
	s_delay_alu instid0(SALU_CYCLE_1)
	s_and_not1_b32 vcc_lo, exec_lo, s13
	s_cbranch_vccnz .LBB4_168
; %bb.163:                              ;   in Loop: Header=BB4_144 Depth=2
	s_and_saveexec_b32 s13, s28
	s_cbranch_execz .LBB4_167
; %bb.164:                              ;   in Loop: Header=BB4_144 Depth=2
	s_or_b32 s12, s11, s12
	s_delay_alu instid0(SALU_CYCLE_1)
	s_and_saveexec_b32 s28, s12
; %bb.165:                              ;   in Loop: Header=BB4_144 Depth=2
	v_lshrrev_b32_e32 v18, 16, v19
	v_cmp_lt_u16_e32 vcc_lo, 0x7c00, v118
	s_delay_alu instid0(VALU_DEP_2) | instskip(SKIP_1) | instid1(VALU_DEP_1)
	v_cmp_gt_f16_e64 s12, v19, v18
	s_and_b32 s11, s11, vcc_lo
	v_cndmask_b32_e64 v18, v19, v18, s12
	s_delay_alu instid0(VALU_DEP_1)
	v_cndmask_b32_e64 v117, v18, 0x7fff, s11
; %bb.166:                              ;   in Loop: Header=BB4_144 Depth=2
	s_or_b32 exec_lo, exec_lo, s28
	s_delay_alu instid0(VALU_DEP_1)
	v_mov_b32_e32 v119, v117
.LBB4_167:                              ;   in Loop: Header=BB4_144 Depth=2
	s_or_b32 exec_lo, exec_lo, s13
	s_delay_alu instid0(VALU_DEP_1)
	v_mov_b32_e32 v18, v119
.LBB4_168:                              ;   in Loop: Header=BB4_144 Depth=2
	v_and_b32_e32 v19, 0x7fff, v22
	v_and_b32_e32 v117, 0x7fff, v23
	v_perm_b32 v118, v23, v22, 0x5040100
	s_mov_b32 s13, -1
	s_and_b32 vcc_lo, exec_lo, s27
	v_cmp_lt_u16_e64 s11, 0x7c00, v19
	v_cmp_gt_u16_e64 s12, 0x7c01, v117
                                        ; implicit-def: $vgpr19
	s_delay_alu instid0(VALU_DEP_1) | instskip(NEXT) | instid1(SALU_CYCLE_1)
	s_and_b32 s28, s11, s12
	s_xor_b32 s28, s28, -1
	s_cbranch_vccz .LBB4_174
; %bb.169:                              ;   in Loop: Header=BB4_144 Depth=2
	v_mov_b32_e32 v19, v23
	s_and_saveexec_b32 s29, s28
	s_cbranch_execz .LBB4_173
; %bb.170:                              ;   in Loop: Header=BB4_144 Depth=2
	v_mov_b32_e32 v19, v22
	s_or_b32 s13, s11, s12
	s_delay_alu instid0(SALU_CYCLE_1)
	s_and_saveexec_b32 vcc_hi, s13
; %bb.171:                              ;   in Loop: Header=BB4_144 Depth=2
	v_lshrrev_b32_e32 v19, 16, v118
	v_cmp_lt_u16_e32 vcc_lo, 0x7c00, v117
	s_delay_alu instid0(VALU_DEP_2) | instskip(NEXT) | instid1(VALU_DEP_1)
	v_cmp_gt_f16_e64 s13, v118, v19
	v_cndmask_b32_e64 v19, v19, v118, s13
	s_and_b32 s13, s11, vcc_lo
	s_delay_alu instid0(VALU_DEP_1) | instid1(SALU_CYCLE_1)
	v_cndmask_b32_e64 v19, v19, 0x7fff, s13
; %bb.172:                              ;   in Loop: Header=BB4_144 Depth=2
	s_or_b32 exec_lo, exec_lo, vcc_hi
.LBB4_173:                              ;   in Loop: Header=BB4_144 Depth=2
	s_delay_alu instid0(SALU_CYCLE_1)
	s_or_b32 exec_lo, exec_lo, s29
	s_mov_b32 s13, 0
.LBB4_174:                              ;   in Loop: Header=BB4_144 Depth=2
	s_delay_alu instid0(SALU_CYCLE_1)
	s_and_not1_b32 vcc_lo, exec_lo, s13
	s_cbranch_vccnz .LBB4_180
; %bb.175:                              ;   in Loop: Header=BB4_144 Depth=2
	v_mov_b32_e32 v19, v23
	s_and_saveexec_b32 s13, s28
	s_cbranch_execz .LBB4_179
; %bb.176:                              ;   in Loop: Header=BB4_144 Depth=2
	v_mov_b32_e32 v19, v22
	s_or_b32 s12, s11, s12
	s_delay_alu instid0(SALU_CYCLE_1)
	s_and_saveexec_b32 s28, s12
; %bb.177:                              ;   in Loop: Header=BB4_144 Depth=2
	v_lshrrev_b32_e32 v19, 16, v118
	v_cmp_lt_u16_e32 vcc_lo, 0x7c00, v117
	s_delay_alu instid0(VALU_DEP_2) | instskip(SKIP_1) | instid1(VALU_DEP_1)
	v_cmp_gt_f16_e64 s12, v118, v19
	s_and_b32 s11, s11, vcc_lo
	v_cndmask_b32_e64 v19, v118, v19, s12
	s_delay_alu instid0(VALU_DEP_1)
	v_cndmask_b32_e64 v19, v19, 0x7fff, s11
; %bb.178:                              ;   in Loop: Header=BB4_144 Depth=2
	s_or_b32 exec_lo, exec_lo, s28
.LBB4_179:                              ;   in Loop: Header=BB4_144 Depth=2
	s_delay_alu instid0(SALU_CYCLE_1)
	s_or_b32 exec_lo, exec_lo, s13
.LBB4_180:                              ;   in Loop: Header=BB4_144 Depth=2
	v_lshrrev_b32_e32 v117, 16, v22
	v_lshrrev_b32_e32 v119, 16, v23
	v_perm_b32 v23, v23, v22, 0x7060302
	s_mov_b32 s13, -1
	s_and_b32 vcc_lo, exec_lo, s27
	v_and_b32_e32 v128, 0x7fff, v117
	v_and_b32_e32 v118, 0x7fff, v119
                                        ; implicit-def: $vgpr22
	s_delay_alu instid0(VALU_DEP_2) | instskip(NEXT) | instid1(VALU_DEP_2)
	v_cmp_lt_u16_e64 s11, 0x7c00, v128
	v_cmp_gt_u16_e64 s12, 0x7c01, v118
	s_delay_alu instid0(VALU_DEP_1) | instskip(NEXT) | instid1(SALU_CYCLE_1)
	s_and_b32 s28, s11, s12
	s_xor_b32 s28, s28, -1
	s_cbranch_vccz .LBB4_186
; %bb.181:                              ;   in Loop: Header=BB4_144 Depth=2
	v_mov_b32_e32 v22, v119
	s_and_saveexec_b32 s29, s28
	s_cbranch_execz .LBB4_185
; %bb.182:                              ;   in Loop: Header=BB4_144 Depth=2
	v_mov_b32_e32 v22, v117
	s_or_b32 s13, s11, s12
	s_delay_alu instid0(SALU_CYCLE_1)
	s_and_saveexec_b32 vcc_hi, s13
; %bb.183:                              ;   in Loop: Header=BB4_144 Depth=2
	v_lshrrev_b32_e32 v22, 16, v23
	v_cmp_lt_u16_e32 vcc_lo, 0x7c00, v118
	s_delay_alu instid0(VALU_DEP_2) | instskip(NEXT) | instid1(VALU_DEP_1)
	v_cmp_gt_f16_e64 s13, v23, v22
	v_cndmask_b32_e64 v22, v22, v23, s13
	s_and_b32 s13, s11, vcc_lo
	s_delay_alu instid0(VALU_DEP_1) | instid1(SALU_CYCLE_1)
	v_cndmask_b32_e64 v22, v22, 0x7fff, s13
; %bb.184:                              ;   in Loop: Header=BB4_144 Depth=2
	s_or_b32 exec_lo, exec_lo, vcc_hi
.LBB4_185:                              ;   in Loop: Header=BB4_144 Depth=2
	s_delay_alu instid0(SALU_CYCLE_1)
	s_or_b32 exec_lo, exec_lo, s29
	s_mov_b32 s13, 0
.LBB4_186:                              ;   in Loop: Header=BB4_144 Depth=2
	s_delay_alu instid0(SALU_CYCLE_1)
	s_and_not1_b32 vcc_lo, exec_lo, s13
	s_cbranch_vccnz .LBB4_192
; %bb.187:                              ;   in Loop: Header=BB4_144 Depth=2
	s_and_saveexec_b32 s13, s28
	s_cbranch_execz .LBB4_191
; %bb.188:                              ;   in Loop: Header=BB4_144 Depth=2
	s_or_b32 s12, s11, s12
	s_delay_alu instid0(SALU_CYCLE_1)
	s_and_saveexec_b32 s28, s12
; %bb.189:                              ;   in Loop: Header=BB4_144 Depth=2
	v_lshrrev_b32_e32 v22, 16, v23
	v_cmp_lt_u16_e32 vcc_lo, 0x7c00, v118
	s_delay_alu instid0(VALU_DEP_2) | instskip(SKIP_1) | instid1(VALU_DEP_1)
	v_cmp_gt_f16_e64 s12, v23, v22
	s_and_b32 s11, s11, vcc_lo
	v_cndmask_b32_e64 v22, v23, v22, s12
	s_delay_alu instid0(VALU_DEP_1)
	v_cndmask_b32_e64 v117, v22, 0x7fff, s11
; %bb.190:                              ;   in Loop: Header=BB4_144 Depth=2
	s_or_b32 exec_lo, exec_lo, s28
	s_delay_alu instid0(VALU_DEP_1)
	v_mov_b32_e32 v119, v117
.LBB4_191:                              ;   in Loop: Header=BB4_144 Depth=2
	s_or_b32 exec_lo, exec_lo, s13
	s_delay_alu instid0(VALU_DEP_1)
	v_mov_b32_e32 v22, v119
.LBB4_192:                              ;   in Loop: Header=BB4_144 Depth=2
	v_and_b32_e32 v23, 0x7fff, v24
	v_and_b32_e32 v117, 0x7fff, v20
	v_perm_b32 v118, v20, v24, 0x5040100
	s_mov_b32 s13, -1
	s_and_b32 vcc_lo, exec_lo, s27
	v_cmp_lt_u16_e64 s11, 0x7c00, v23
	v_cmp_gt_u16_e64 s12, 0x7c01, v117
                                        ; implicit-def: $vgpr23
	s_delay_alu instid0(VALU_DEP_1) | instskip(NEXT) | instid1(SALU_CYCLE_1)
	s_and_b32 s28, s11, s12
	s_xor_b32 s28, s28, -1
	s_cbranch_vccz .LBB4_198
; %bb.193:                              ;   in Loop: Header=BB4_144 Depth=2
	v_mov_b32_e32 v23, v20
	s_and_saveexec_b32 s29, s28
	s_cbranch_execz .LBB4_197
; %bb.194:                              ;   in Loop: Header=BB4_144 Depth=2
	v_mov_b32_e32 v23, v24
	s_or_b32 s13, s11, s12
	s_delay_alu instid0(SALU_CYCLE_1)
	s_and_saveexec_b32 vcc_hi, s13
; %bb.195:                              ;   in Loop: Header=BB4_144 Depth=2
	v_lshrrev_b32_e32 v23, 16, v118
	v_cmp_lt_u16_e32 vcc_lo, 0x7c00, v117
	s_delay_alu instid0(VALU_DEP_2) | instskip(NEXT) | instid1(VALU_DEP_1)
	v_cmp_gt_f16_e64 s13, v118, v23
	v_cndmask_b32_e64 v23, v23, v118, s13
	s_and_b32 s13, s11, vcc_lo
	s_delay_alu instid0(VALU_DEP_1) | instid1(SALU_CYCLE_1)
	v_cndmask_b32_e64 v23, v23, 0x7fff, s13
; %bb.196:                              ;   in Loop: Header=BB4_144 Depth=2
	s_or_b32 exec_lo, exec_lo, vcc_hi
.LBB4_197:                              ;   in Loop: Header=BB4_144 Depth=2
	s_delay_alu instid0(SALU_CYCLE_1)
	s_or_b32 exec_lo, exec_lo, s29
	s_mov_b32 s13, 0
.LBB4_198:                              ;   in Loop: Header=BB4_144 Depth=2
	s_delay_alu instid0(SALU_CYCLE_1)
	s_and_not1_b32 vcc_lo, exec_lo, s13
	s_cbranch_vccnz .LBB4_204
; %bb.199:                              ;   in Loop: Header=BB4_144 Depth=2
	v_mov_b32_e32 v23, v20
	s_and_saveexec_b32 s13, s28
	s_cbranch_execz .LBB4_203
; %bb.200:                              ;   in Loop: Header=BB4_144 Depth=2
	v_mov_b32_e32 v23, v24
	s_or_b32 s12, s11, s12
	s_delay_alu instid0(SALU_CYCLE_1)
	s_and_saveexec_b32 s28, s12
; %bb.201:                              ;   in Loop: Header=BB4_144 Depth=2
	v_lshrrev_b32_e32 v23, 16, v118
	v_cmp_lt_u16_e32 vcc_lo, 0x7c00, v117
	s_delay_alu instid0(VALU_DEP_2) | instskip(SKIP_1) | instid1(VALU_DEP_1)
	v_cmp_gt_f16_e64 s12, v118, v23
	s_and_b32 s11, s11, vcc_lo
	v_cndmask_b32_e64 v23, v118, v23, s12
	s_delay_alu instid0(VALU_DEP_1)
	v_cndmask_b32_e64 v23, v23, 0x7fff, s11
; %bb.202:                              ;   in Loop: Header=BB4_144 Depth=2
	s_or_b32 exec_lo, exec_lo, s28
.LBB4_203:                              ;   in Loop: Header=BB4_144 Depth=2
	s_delay_alu instid0(SALU_CYCLE_1)
	s_or_b32 exec_lo, exec_lo, s13
.LBB4_204:                              ;   in Loop: Header=BB4_144 Depth=2
	v_mov_b32_e32 v128, v24
	v_lshrrev_b32_e32 v119, 16, v20
	s_mov_b32 s13, -1
	s_and_b32 vcc_lo, exec_lo, s27
	s_delay_alu instid0(VALU_DEP_2) | instskip(NEXT) | instid1(VALU_DEP_2)
	v_lshrrev_b32_e32 v117, 16, v128
	v_and_b32_e32 v118, 0x7fff, v119
	v_perm_b32 v20, v20, v128, 0x7060302
	s_delay_alu instid0(VALU_DEP_3) | instskip(NEXT) | instid1(VALU_DEP_3)
	v_and_b32_e32 v24, 0x7fff, v117
	v_cmp_gt_u16_e64 s12, 0x7c01, v118
	s_delay_alu instid0(VALU_DEP_2) | instskip(NEXT) | instid1(VALU_DEP_1)
	v_cmp_lt_u16_e64 s11, 0x7c00, v24
                                        ; implicit-def: $vgpr24
	s_and_b32 s28, s11, s12
	s_delay_alu instid0(SALU_CYCLE_1)
	s_xor_b32 s28, s28, -1
	s_cbranch_vccz .LBB4_210
; %bb.205:                              ;   in Loop: Header=BB4_144 Depth=2
	v_mov_b32_e32 v24, v119
	s_and_saveexec_b32 s29, s28
	s_cbranch_execz .LBB4_209
; %bb.206:                              ;   in Loop: Header=BB4_144 Depth=2
	v_mov_b32_e32 v24, v117
	s_or_b32 s13, s11, s12
	s_delay_alu instid0(SALU_CYCLE_1)
	s_and_saveexec_b32 vcc_hi, s13
; %bb.207:                              ;   in Loop: Header=BB4_144 Depth=2
	v_lshrrev_b32_e32 v24, 16, v20
	v_cmp_lt_u16_e32 vcc_lo, 0x7c00, v118
	s_delay_alu instid0(VALU_DEP_2) | instskip(NEXT) | instid1(VALU_DEP_1)
	v_cmp_gt_f16_e64 s13, v20, v24
	v_cndmask_b32_e64 v24, v24, v20, s13
	s_and_b32 s13, s11, vcc_lo
	s_delay_alu instid0(VALU_DEP_1) | instid1(SALU_CYCLE_1)
	v_cndmask_b32_e64 v24, v24, 0x7fff, s13
; %bb.208:                              ;   in Loop: Header=BB4_144 Depth=2
	s_or_b32 exec_lo, exec_lo, vcc_hi
.LBB4_209:                              ;   in Loop: Header=BB4_144 Depth=2
	s_delay_alu instid0(SALU_CYCLE_1)
	s_or_b32 exec_lo, exec_lo, s29
	s_mov_b32 s13, 0
.LBB4_210:                              ;   in Loop: Header=BB4_144 Depth=2
	s_delay_alu instid0(SALU_CYCLE_1)
	s_and_not1_b32 vcc_lo, exec_lo, s13
	s_cbranch_vccnz .LBB4_216
; %bb.211:                              ;   in Loop: Header=BB4_144 Depth=2
	s_and_saveexec_b32 s13, s28
	s_cbranch_execz .LBB4_215
; %bb.212:                              ;   in Loop: Header=BB4_144 Depth=2
	s_or_b32 s12, s11, s12
	s_delay_alu instid0(SALU_CYCLE_1)
	s_and_saveexec_b32 s28, s12
; %bb.213:                              ;   in Loop: Header=BB4_144 Depth=2
	v_lshrrev_b32_e32 v24, 16, v20
	v_cmp_lt_u16_e32 vcc_lo, 0x7c00, v118
	s_delay_alu instid0(VALU_DEP_2) | instskip(SKIP_1) | instid1(VALU_DEP_1)
	v_cmp_gt_f16_e64 s12, v20, v24
	s_and_b32 s11, s11, vcc_lo
	v_cndmask_b32_e64 v20, v20, v24, s12
	s_delay_alu instid0(VALU_DEP_1)
	v_cndmask_b32_e64 v117, v20, 0x7fff, s11
; %bb.214:                              ;   in Loop: Header=BB4_144 Depth=2
	s_or_b32 exec_lo, exec_lo, s28
	s_delay_alu instid0(VALU_DEP_1)
	v_mov_b32_e32 v119, v117
.LBB4_215:                              ;   in Loop: Header=BB4_144 Depth=2
	s_or_b32 exec_lo, exec_lo, s13
	s_delay_alu instid0(VALU_DEP_1)
	v_mov_b32_e32 v24, v119
.LBB4_216:                              ;   in Loop: Header=BB4_144 Depth=2
	v_and_b32_e32 v20, 0x7fff, v25
	v_and_b32_e32 v117, 0x7fff, v21
	v_perm_b32 v118, v21, v25, 0x5040100
	s_mov_b32 s13, -1
	s_and_b32 vcc_lo, exec_lo, s27
	v_cmp_lt_u16_e64 s11, 0x7c00, v20
	v_cmp_gt_u16_e64 s12, 0x7c01, v117
                                        ; implicit-def: $vgpr20
	s_delay_alu instid0(VALU_DEP_1) | instskip(NEXT) | instid1(SALU_CYCLE_1)
	s_and_b32 s28, s11, s12
	s_xor_b32 s28, s28, -1
	s_cbranch_vccz .LBB4_222
; %bb.217:                              ;   in Loop: Header=BB4_144 Depth=2
	v_mov_b32_e32 v20, v21
	s_and_saveexec_b32 s29, s28
	s_cbranch_execz .LBB4_221
; %bb.218:                              ;   in Loop: Header=BB4_144 Depth=2
	v_mov_b32_e32 v20, v25
	s_or_b32 s13, s11, s12
	s_delay_alu instid0(SALU_CYCLE_1)
	s_and_saveexec_b32 vcc_hi, s13
; %bb.219:                              ;   in Loop: Header=BB4_144 Depth=2
	v_lshrrev_b32_e32 v20, 16, v118
	v_cmp_lt_u16_e32 vcc_lo, 0x7c00, v117
	s_delay_alu instid0(VALU_DEP_2) | instskip(NEXT) | instid1(VALU_DEP_1)
	v_cmp_gt_f16_e64 s13, v118, v20
	v_cndmask_b32_e64 v20, v20, v118, s13
	s_and_b32 s13, s11, vcc_lo
	s_delay_alu instid0(VALU_DEP_1) | instid1(SALU_CYCLE_1)
	v_cndmask_b32_e64 v20, v20, 0x7fff, s13
; %bb.220:                              ;   in Loop: Header=BB4_144 Depth=2
	s_or_b32 exec_lo, exec_lo, vcc_hi
.LBB4_221:                              ;   in Loop: Header=BB4_144 Depth=2
	s_delay_alu instid0(SALU_CYCLE_1)
	s_or_b32 exec_lo, exec_lo, s29
	s_mov_b32 s13, 0
.LBB4_222:                              ;   in Loop: Header=BB4_144 Depth=2
	s_delay_alu instid0(SALU_CYCLE_1)
	s_and_not1_b32 vcc_lo, exec_lo, s13
	s_cbranch_vccnz .LBB4_228
; %bb.223:                              ;   in Loop: Header=BB4_144 Depth=2
	v_mov_b32_e32 v20, v21
	s_and_saveexec_b32 s13, s28
	s_cbranch_execz .LBB4_227
; %bb.224:                              ;   in Loop: Header=BB4_144 Depth=2
	v_mov_b32_e32 v20, v25
	s_or_b32 s12, s11, s12
	s_delay_alu instid0(SALU_CYCLE_1)
	s_and_saveexec_b32 s28, s12
; %bb.225:                              ;   in Loop: Header=BB4_144 Depth=2
	v_lshrrev_b32_e32 v20, 16, v118
	v_cmp_lt_u16_e32 vcc_lo, 0x7c00, v117
	s_delay_alu instid0(VALU_DEP_2) | instskip(SKIP_1) | instid1(VALU_DEP_1)
	v_cmp_gt_f16_e64 s12, v118, v20
	s_and_b32 s11, s11, vcc_lo
	v_cndmask_b32_e64 v20, v118, v20, s12
	s_delay_alu instid0(VALU_DEP_1)
	v_cndmask_b32_e64 v20, v20, 0x7fff, s11
; %bb.226:                              ;   in Loop: Header=BB4_144 Depth=2
	s_or_b32 exec_lo, exec_lo, s28
.LBB4_227:                              ;   in Loop: Header=BB4_144 Depth=2
	s_delay_alu instid0(SALU_CYCLE_1)
	s_or_b32 exec_lo, exec_lo, s13
.LBB4_228:                              ;   in Loop: Header=BB4_144 Depth=2
	v_lshrrev_b32_e32 v117, 16, v25
	v_lshrrev_b32_e32 v119, 16, v21
	v_perm_b32 v25, v21, v25, 0x7060302
	s_mov_b32 s13, -1
	s_and_b32 vcc_lo, exec_lo, s27
	v_and_b32_e32 v128, 0x7fff, v117
	v_and_b32_e32 v118, 0x7fff, v119
                                        ; implicit-def: $vgpr21
	s_delay_alu instid0(VALU_DEP_2) | instskip(NEXT) | instid1(VALU_DEP_2)
	v_cmp_lt_u16_e64 s11, 0x7c00, v128
	v_cmp_gt_u16_e64 s12, 0x7c01, v118
	s_delay_alu instid0(VALU_DEP_1) | instskip(NEXT) | instid1(SALU_CYCLE_1)
	s_and_b32 s28, s11, s12
	s_xor_b32 s28, s28, -1
	s_cbranch_vccz .LBB4_234
; %bb.229:                              ;   in Loop: Header=BB4_144 Depth=2
	v_mov_b32_e32 v21, v119
	s_and_saveexec_b32 s29, s28
	s_cbranch_execz .LBB4_233
; %bb.230:                              ;   in Loop: Header=BB4_144 Depth=2
	v_mov_b32_e32 v21, v117
	s_or_b32 s13, s11, s12
	s_delay_alu instid0(SALU_CYCLE_1)
	s_and_saveexec_b32 vcc_hi, s13
; %bb.231:                              ;   in Loop: Header=BB4_144 Depth=2
	v_lshrrev_b32_e32 v21, 16, v25
	v_cmp_lt_u16_e32 vcc_lo, 0x7c00, v118
	s_delay_alu instid0(VALU_DEP_2) | instskip(NEXT) | instid1(VALU_DEP_1)
	v_cmp_gt_f16_e64 s13, v25, v21
	v_cndmask_b32_e64 v21, v21, v25, s13
	s_and_b32 s13, s11, vcc_lo
	s_delay_alu instid0(VALU_DEP_1) | instid1(SALU_CYCLE_1)
	v_cndmask_b32_e64 v21, v21, 0x7fff, s13
; %bb.232:                              ;   in Loop: Header=BB4_144 Depth=2
	s_or_b32 exec_lo, exec_lo, vcc_hi
.LBB4_233:                              ;   in Loop: Header=BB4_144 Depth=2
	s_delay_alu instid0(SALU_CYCLE_1)
	s_or_b32 exec_lo, exec_lo, s29
	s_mov_b32 s13, 0
.LBB4_234:                              ;   in Loop: Header=BB4_144 Depth=2
	s_delay_alu instid0(SALU_CYCLE_1)
	s_and_not1_b32 vcc_lo, exec_lo, s13
	s_cbranch_vccnz .LBB4_240
; %bb.235:                              ;   in Loop: Header=BB4_144 Depth=2
	s_and_saveexec_b32 s13, s28
	s_cbranch_execz .LBB4_239
; %bb.236:                              ;   in Loop: Header=BB4_144 Depth=2
	s_or_b32 s12, s11, s12
	s_delay_alu instid0(SALU_CYCLE_1)
	s_and_saveexec_b32 s28, s12
; %bb.237:                              ;   in Loop: Header=BB4_144 Depth=2
	v_lshrrev_b32_e32 v21, 16, v25
	v_cmp_lt_u16_e32 vcc_lo, 0x7c00, v118
	s_delay_alu instid0(VALU_DEP_2) | instskip(SKIP_1) | instid1(VALU_DEP_1)
	v_cmp_gt_f16_e64 s12, v25, v21
	s_and_b32 s11, s11, vcc_lo
	v_cndmask_b32_e64 v21, v25, v21, s12
	s_delay_alu instid0(VALU_DEP_1)
	v_cndmask_b32_e64 v117, v21, 0x7fff, s11
; %bb.238:                              ;   in Loop: Header=BB4_144 Depth=2
	s_or_b32 exec_lo, exec_lo, s28
	s_delay_alu instid0(VALU_DEP_1)
	v_mov_b32_e32 v119, v117
.LBB4_239:                              ;   in Loop: Header=BB4_144 Depth=2
	s_or_b32 exec_lo, exec_lo, s13
	s_delay_alu instid0(VALU_DEP_1)
	v_mov_b32_e32 v21, v119
.LBB4_240:                              ;   in Loop: Header=BB4_144 Depth=2
	s_waitcnt vmcnt(1)
	v_and_b32_e32 v25, 0x7fff, v14
	s_waitcnt vmcnt(0)
	v_and_b32_e32 v117, 0x7fff, v10
	v_perm_b32 v118, v10, v14, 0x5040100
	s_mov_b32 s13, -1
	s_and_not1_b32 vcc_lo, exec_lo, s27
	v_cmp_lt_u16_e64 s11, 0x7c00, v25
	v_cmp_gt_u16_e64 s12, 0x7c01, v117
                                        ; implicit-def: $vgpr25
	s_delay_alu instid0(VALU_DEP_1) | instskip(NEXT) | instid1(SALU_CYCLE_1)
	s_and_b32 s28, s11, s12
	s_xor_b32 s28, s28, -1
	s_cbranch_vccnz .LBB4_246
; %bb.241:                              ;   in Loop: Header=BB4_144 Depth=2
	v_mov_b32_e32 v25, v10
	s_and_saveexec_b32 s29, s28
	s_cbranch_execz .LBB4_245
; %bb.242:                              ;   in Loop: Header=BB4_144 Depth=2
	v_mov_b32_e32 v25, v14
	s_or_b32 s13, s11, s12
	s_delay_alu instid0(SALU_CYCLE_1)
	s_and_saveexec_b32 vcc_hi, s13
; %bb.243:                              ;   in Loop: Header=BB4_144 Depth=2
	v_lshrrev_b32_e32 v25, 16, v118
	v_cmp_lt_u16_e32 vcc_lo, 0x7c00, v117
	s_delay_alu instid0(VALU_DEP_2) | instskip(NEXT) | instid1(VALU_DEP_1)
	v_cmp_gt_f16_e64 s13, v118, v25
	v_cndmask_b32_e64 v25, v25, v118, s13
	s_and_b32 s13, s11, vcc_lo
	s_delay_alu instid0(VALU_DEP_1) | instid1(SALU_CYCLE_1)
	v_cndmask_b32_e64 v25, v25, 0x7fff, s13
; %bb.244:                              ;   in Loop: Header=BB4_144 Depth=2
	s_or_b32 exec_lo, exec_lo, vcc_hi
.LBB4_245:                              ;   in Loop: Header=BB4_144 Depth=2
	s_delay_alu instid0(SALU_CYCLE_1)
	s_or_b32 exec_lo, exec_lo, s29
	s_mov_b32 s13, 0
.LBB4_246:                              ;   in Loop: Header=BB4_144 Depth=2
	s_delay_alu instid0(SALU_CYCLE_1)
	s_and_not1_b32 vcc_lo, exec_lo, s13
	s_cbranch_vccnz .LBB4_252
; %bb.247:                              ;   in Loop: Header=BB4_144 Depth=2
	v_mov_b32_e32 v25, v10
	s_and_saveexec_b32 s13, s28
	s_cbranch_execz .LBB4_251
; %bb.248:                              ;   in Loop: Header=BB4_144 Depth=2
	v_mov_b32_e32 v25, v14
	s_or_b32 s12, s11, s12
	s_delay_alu instid0(SALU_CYCLE_1)
	s_and_saveexec_b32 s28, s12
; %bb.249:                              ;   in Loop: Header=BB4_144 Depth=2
	v_lshrrev_b32_e32 v25, 16, v118
	v_cmp_lt_u16_e32 vcc_lo, 0x7c00, v117
	s_delay_alu instid0(VALU_DEP_2) | instskip(SKIP_1) | instid1(VALU_DEP_1)
	v_cmp_gt_f16_e64 s12, v118, v25
	s_and_b32 s11, s11, vcc_lo
	v_cndmask_b32_e64 v25, v118, v25, s12
	s_delay_alu instid0(VALU_DEP_1)
	v_cndmask_b32_e64 v25, v25, 0x7fff, s11
; %bb.250:                              ;   in Loop: Header=BB4_144 Depth=2
	s_or_b32 exec_lo, exec_lo, s28
.LBB4_251:                              ;   in Loop: Header=BB4_144 Depth=2
	s_delay_alu instid0(SALU_CYCLE_1)
	s_or_b32 exec_lo, exec_lo, s13
.LBB4_252:                              ;   in Loop: Header=BB4_144 Depth=2
	v_mov_b32_e32 v128, v14
	v_lshrrev_b32_e32 v119, 16, v10
	s_mov_b32 s13, -1
	s_and_not1_b32 vcc_lo, exec_lo, s27
	s_delay_alu instid0(VALU_DEP_2) | instskip(NEXT) | instid1(VALU_DEP_2)
	v_lshrrev_b32_e32 v117, 16, v128
	v_and_b32_e32 v118, 0x7fff, v119
	s_delay_alu instid0(VALU_DEP_2) | instskip(NEXT) | instid1(VALU_DEP_2)
	v_and_b32_e32 v14, 0x7fff, v117
	v_cmp_gt_u16_e64 s12, 0x7c01, v118
	s_delay_alu instid0(VALU_DEP_2) | instskip(SKIP_3) | instid1(VALU_DEP_4)
	v_cmp_lt_u16_e64 s11, 0x7c00, v14
	v_mov_b32_e32 v14, v15
	v_mov_b32_e32 v15, v11
	v_perm_b32 v11, v10, v128, 0x7060302
                                        ; implicit-def: $vgpr10
	s_and_b32 s28, s11, s12
	s_delay_alu instid0(SALU_CYCLE_1)
	s_xor_b32 s28, s28, -1
	s_cbranch_vccnz .LBB4_258
; %bb.253:                              ;   in Loop: Header=BB4_144 Depth=2
	v_mov_b32_e32 v10, v119
	s_and_saveexec_b32 s29, s28
	s_cbranch_execz .LBB4_257
; %bb.254:                              ;   in Loop: Header=BB4_144 Depth=2
	v_mov_b32_e32 v10, v117
	s_or_b32 s13, s11, s12
	s_delay_alu instid0(SALU_CYCLE_1)
	s_and_saveexec_b32 vcc_hi, s13
; %bb.255:                              ;   in Loop: Header=BB4_144 Depth=2
	v_lshrrev_b32_e32 v10, 16, v11
	v_cmp_lt_u16_e32 vcc_lo, 0x7c00, v118
	s_delay_alu instid0(VALU_DEP_2) | instskip(NEXT) | instid1(VALU_DEP_1)
	v_cmp_gt_f16_e64 s13, v11, v10
	v_cndmask_b32_e64 v10, v10, v11, s13
	s_and_b32 s13, s11, vcc_lo
	s_delay_alu instid0(VALU_DEP_1) | instid1(SALU_CYCLE_1)
	v_cndmask_b32_e64 v10, v10, 0x7fff, s13
; %bb.256:                              ;   in Loop: Header=BB4_144 Depth=2
	s_or_b32 exec_lo, exec_lo, vcc_hi
.LBB4_257:                              ;   in Loop: Header=BB4_144 Depth=2
	s_delay_alu instid0(SALU_CYCLE_1)
	s_or_b32 exec_lo, exec_lo, s29
	s_mov_b32 s13, 0
.LBB4_258:                              ;   in Loop: Header=BB4_144 Depth=2
	s_delay_alu instid0(SALU_CYCLE_1)
	s_and_not1_b32 vcc_lo, exec_lo, s13
	s_cbranch_vccnz .LBB4_264
; %bb.259:                              ;   in Loop: Header=BB4_144 Depth=2
	s_and_saveexec_b32 s13, s28
	s_cbranch_execz .LBB4_263
; %bb.260:                              ;   in Loop: Header=BB4_144 Depth=2
	s_or_b32 s12, s11, s12
	s_delay_alu instid0(SALU_CYCLE_1)
	s_and_saveexec_b32 s28, s12
; %bb.261:                              ;   in Loop: Header=BB4_144 Depth=2
	v_lshrrev_b32_e32 v10, 16, v11
	v_cmp_lt_u16_e32 vcc_lo, 0x7c00, v118
	s_delay_alu instid0(VALU_DEP_2) | instskip(SKIP_1) | instid1(VALU_DEP_1)
	v_cmp_gt_f16_e64 s12, v11, v10
	s_and_b32 s11, s11, vcc_lo
	v_cndmask_b32_e64 v10, v11, v10, s12
	s_delay_alu instid0(VALU_DEP_1)
	v_cndmask_b32_e64 v117, v10, 0x7fff, s11
; %bb.262:                              ;   in Loop: Header=BB4_144 Depth=2
	s_or_b32 exec_lo, exec_lo, s28
	s_delay_alu instid0(VALU_DEP_1)
	v_mov_b32_e32 v119, v117
.LBB4_263:                              ;   in Loop: Header=BB4_144 Depth=2
	s_or_b32 exec_lo, exec_lo, s13
	s_delay_alu instid0(VALU_DEP_1)
	v_mov_b32_e32 v10, v119
.LBB4_264:                              ;   in Loop: Header=BB4_144 Depth=2
	v_and_b32_e32 v11, 0x7fff, v14
	v_and_b32_e32 v117, 0x7fff, v15
	v_perm_b32 v118, v15, v14, 0x5040100
	s_mov_b32 s13, -1
	s_and_not1_b32 vcc_lo, exec_lo, s27
	v_cmp_lt_u16_e64 s11, 0x7c00, v11
	v_cmp_gt_u16_e64 s12, 0x7c01, v117
                                        ; implicit-def: $vgpr11
	s_delay_alu instid0(VALU_DEP_1) | instskip(NEXT) | instid1(SALU_CYCLE_1)
	s_and_b32 s28, s11, s12
	s_xor_b32 s28, s28, -1
	s_cbranch_vccnz .LBB4_270
; %bb.265:                              ;   in Loop: Header=BB4_144 Depth=2
	v_mov_b32_e32 v11, v15
	s_and_saveexec_b32 s29, s28
	s_cbranch_execz .LBB4_269
; %bb.266:                              ;   in Loop: Header=BB4_144 Depth=2
	v_mov_b32_e32 v11, v14
	s_or_b32 s13, s11, s12
	s_delay_alu instid0(SALU_CYCLE_1)
	s_and_saveexec_b32 vcc_hi, s13
; %bb.267:                              ;   in Loop: Header=BB4_144 Depth=2
	v_lshrrev_b32_e32 v11, 16, v118
	v_cmp_lt_u16_e32 vcc_lo, 0x7c00, v117
	s_delay_alu instid0(VALU_DEP_2) | instskip(NEXT) | instid1(VALU_DEP_1)
	v_cmp_gt_f16_e64 s13, v118, v11
	v_cndmask_b32_e64 v11, v11, v118, s13
	s_and_b32 s13, s11, vcc_lo
	s_delay_alu instid0(VALU_DEP_1) | instid1(SALU_CYCLE_1)
	v_cndmask_b32_e64 v11, v11, 0x7fff, s13
; %bb.268:                              ;   in Loop: Header=BB4_144 Depth=2
	s_or_b32 exec_lo, exec_lo, vcc_hi
.LBB4_269:                              ;   in Loop: Header=BB4_144 Depth=2
	s_delay_alu instid0(SALU_CYCLE_1)
	s_or_b32 exec_lo, exec_lo, s29
	s_mov_b32 s13, 0
.LBB4_270:                              ;   in Loop: Header=BB4_144 Depth=2
	s_delay_alu instid0(SALU_CYCLE_1)
	s_and_not1_b32 vcc_lo, exec_lo, s13
	s_cbranch_vccnz .LBB4_276
; %bb.271:                              ;   in Loop: Header=BB4_144 Depth=2
	v_mov_b32_e32 v11, v15
	s_and_saveexec_b32 s13, s28
	s_cbranch_execz .LBB4_275
; %bb.272:                              ;   in Loop: Header=BB4_144 Depth=2
	v_mov_b32_e32 v11, v14
	s_or_b32 s12, s11, s12
	s_delay_alu instid0(SALU_CYCLE_1)
	s_and_saveexec_b32 s28, s12
; %bb.273:                              ;   in Loop: Header=BB4_144 Depth=2
	v_lshrrev_b32_e32 v11, 16, v118
	v_cmp_lt_u16_e32 vcc_lo, 0x7c00, v117
	s_delay_alu instid0(VALU_DEP_2) | instskip(SKIP_1) | instid1(VALU_DEP_1)
	v_cmp_gt_f16_e64 s12, v118, v11
	s_and_b32 s11, s11, vcc_lo
	v_cndmask_b32_e64 v11, v118, v11, s12
	s_delay_alu instid0(VALU_DEP_1)
	v_cndmask_b32_e64 v11, v11, 0x7fff, s11
; %bb.274:                              ;   in Loop: Header=BB4_144 Depth=2
	s_or_b32 exec_lo, exec_lo, s28
.LBB4_275:                              ;   in Loop: Header=BB4_144 Depth=2
	s_delay_alu instid0(SALU_CYCLE_1)
	s_or_b32 exec_lo, exec_lo, s13
.LBB4_276:                              ;   in Loop: Header=BB4_144 Depth=2
	v_lshrrev_b32_e32 v117, 16, v14
	v_lshrrev_b32_e32 v119, 16, v15
	v_perm_b32 v15, v15, v14, 0x7060302
	s_mov_b32 s13, -1
	s_and_not1_b32 vcc_lo, exec_lo, s27
	v_and_b32_e32 v128, 0x7fff, v117
	v_and_b32_e32 v118, 0x7fff, v119
                                        ; implicit-def: $vgpr14
	s_delay_alu instid0(VALU_DEP_2) | instskip(NEXT) | instid1(VALU_DEP_2)
	v_cmp_lt_u16_e64 s11, 0x7c00, v128
	v_cmp_gt_u16_e64 s12, 0x7c01, v118
	s_delay_alu instid0(VALU_DEP_1) | instskip(NEXT) | instid1(SALU_CYCLE_1)
	s_and_b32 s28, s11, s12
	s_xor_b32 s28, s28, -1
	s_cbranch_vccnz .LBB4_282
; %bb.277:                              ;   in Loop: Header=BB4_144 Depth=2
	v_mov_b32_e32 v14, v119
	s_and_saveexec_b32 s29, s28
	s_cbranch_execz .LBB4_281
; %bb.278:                              ;   in Loop: Header=BB4_144 Depth=2
	v_mov_b32_e32 v14, v117
	s_or_b32 s13, s11, s12
	s_delay_alu instid0(SALU_CYCLE_1)
	s_and_saveexec_b32 vcc_hi, s13
; %bb.279:                              ;   in Loop: Header=BB4_144 Depth=2
	v_lshrrev_b32_e32 v14, 16, v15
	v_cmp_lt_u16_e32 vcc_lo, 0x7c00, v118
	s_delay_alu instid0(VALU_DEP_2) | instskip(NEXT) | instid1(VALU_DEP_1)
	v_cmp_gt_f16_e64 s13, v15, v14
	v_cndmask_b32_e64 v14, v14, v15, s13
	s_and_b32 s13, s11, vcc_lo
	s_delay_alu instid0(VALU_DEP_1) | instid1(SALU_CYCLE_1)
	v_cndmask_b32_e64 v14, v14, 0x7fff, s13
; %bb.280:                              ;   in Loop: Header=BB4_144 Depth=2
	s_or_b32 exec_lo, exec_lo, vcc_hi
.LBB4_281:                              ;   in Loop: Header=BB4_144 Depth=2
	s_delay_alu instid0(SALU_CYCLE_1)
	s_or_b32 exec_lo, exec_lo, s29
	s_mov_b32 s13, 0
.LBB4_282:                              ;   in Loop: Header=BB4_144 Depth=2
	s_delay_alu instid0(SALU_CYCLE_1)
	s_and_not1_b32 vcc_lo, exec_lo, s13
	s_cbranch_vccnz .LBB4_288
; %bb.283:                              ;   in Loop: Header=BB4_144 Depth=2
	s_and_saveexec_b32 s13, s28
	s_cbranch_execz .LBB4_287
; %bb.284:                              ;   in Loop: Header=BB4_144 Depth=2
	s_or_b32 s12, s11, s12
	s_delay_alu instid0(SALU_CYCLE_1)
	s_and_saveexec_b32 s28, s12
; %bb.285:                              ;   in Loop: Header=BB4_144 Depth=2
	v_lshrrev_b32_e32 v14, 16, v15
	v_cmp_lt_u16_e32 vcc_lo, 0x7c00, v118
	s_delay_alu instid0(VALU_DEP_2) | instskip(SKIP_1) | instid1(VALU_DEP_1)
	v_cmp_gt_f16_e64 s12, v15, v14
	s_and_b32 s11, s11, vcc_lo
	v_cndmask_b32_e64 v14, v15, v14, s12
	s_delay_alu instid0(VALU_DEP_1)
	v_cndmask_b32_e64 v117, v14, 0x7fff, s11
; %bb.286:                              ;   in Loop: Header=BB4_144 Depth=2
	s_or_b32 exec_lo, exec_lo, s28
	s_delay_alu instid0(VALU_DEP_1)
	v_mov_b32_e32 v119, v117
.LBB4_287:                              ;   in Loop: Header=BB4_144 Depth=2
	s_or_b32 exec_lo, exec_lo, s13
	s_delay_alu instid0(VALU_DEP_1)
	v_mov_b32_e32 v14, v119
.LBB4_288:                              ;   in Loop: Header=BB4_144 Depth=2
	v_and_b32_e32 v15, 0x7fff, v16
	v_and_b32_e32 v117, 0x7fff, v12
	v_perm_b32 v118, v12, v16, 0x5040100
	s_mov_b32 s13, -1
	s_and_not1_b32 vcc_lo, exec_lo, s27
	v_cmp_lt_u16_e64 s11, 0x7c00, v15
	v_cmp_gt_u16_e64 s12, 0x7c01, v117
                                        ; implicit-def: $vgpr15
	s_delay_alu instid0(VALU_DEP_1) | instskip(NEXT) | instid1(SALU_CYCLE_1)
	s_and_b32 s28, s11, s12
	s_xor_b32 s28, s28, -1
	s_cbranch_vccnz .LBB4_294
; %bb.289:                              ;   in Loop: Header=BB4_144 Depth=2
	v_mov_b32_e32 v15, v12
	s_and_saveexec_b32 s29, s28
	s_cbranch_execz .LBB4_293
; %bb.290:                              ;   in Loop: Header=BB4_144 Depth=2
	v_mov_b32_e32 v15, v16
	s_or_b32 s13, s11, s12
	s_delay_alu instid0(SALU_CYCLE_1)
	s_and_saveexec_b32 vcc_hi, s13
; %bb.291:                              ;   in Loop: Header=BB4_144 Depth=2
	v_lshrrev_b32_e32 v15, 16, v118
	v_cmp_lt_u16_e32 vcc_lo, 0x7c00, v117
	s_delay_alu instid0(VALU_DEP_2) | instskip(NEXT) | instid1(VALU_DEP_1)
	v_cmp_gt_f16_e64 s13, v118, v15
	v_cndmask_b32_e64 v15, v15, v118, s13
	s_and_b32 s13, s11, vcc_lo
	s_delay_alu instid0(VALU_DEP_1) | instid1(SALU_CYCLE_1)
	v_cndmask_b32_e64 v15, v15, 0x7fff, s13
; %bb.292:                              ;   in Loop: Header=BB4_144 Depth=2
	s_or_b32 exec_lo, exec_lo, vcc_hi
.LBB4_293:                              ;   in Loop: Header=BB4_144 Depth=2
	s_delay_alu instid0(SALU_CYCLE_1)
	s_or_b32 exec_lo, exec_lo, s29
	s_mov_b32 s13, 0
.LBB4_294:                              ;   in Loop: Header=BB4_144 Depth=2
	s_delay_alu instid0(SALU_CYCLE_1)
	s_and_not1_b32 vcc_lo, exec_lo, s13
	s_cbranch_vccnz .LBB4_300
; %bb.295:                              ;   in Loop: Header=BB4_144 Depth=2
	v_mov_b32_e32 v15, v12
	s_and_saveexec_b32 s13, s28
	s_cbranch_execz .LBB4_299
; %bb.296:                              ;   in Loop: Header=BB4_144 Depth=2
	v_mov_b32_e32 v15, v16
	s_or_b32 s12, s11, s12
	s_delay_alu instid0(SALU_CYCLE_1)
	s_and_saveexec_b32 s28, s12
; %bb.297:                              ;   in Loop: Header=BB4_144 Depth=2
	v_lshrrev_b32_e32 v15, 16, v118
	v_cmp_lt_u16_e32 vcc_lo, 0x7c00, v117
	s_delay_alu instid0(VALU_DEP_2) | instskip(SKIP_1) | instid1(VALU_DEP_1)
	v_cmp_gt_f16_e64 s12, v118, v15
	s_and_b32 s11, s11, vcc_lo
	v_cndmask_b32_e64 v15, v118, v15, s12
	s_delay_alu instid0(VALU_DEP_1)
	v_cndmask_b32_e64 v15, v15, 0x7fff, s11
; %bb.298:                              ;   in Loop: Header=BB4_144 Depth=2
	s_or_b32 exec_lo, exec_lo, s28
.LBB4_299:                              ;   in Loop: Header=BB4_144 Depth=2
	s_delay_alu instid0(SALU_CYCLE_1)
	s_or_b32 exec_lo, exec_lo, s13
.LBB4_300:                              ;   in Loop: Header=BB4_144 Depth=2
	v_mov_b32_e32 v128, v16
	v_lshrrev_b32_e32 v119, 16, v12
	s_mov_b32 s13, -1
	s_and_not1_b32 vcc_lo, exec_lo, s27
	s_delay_alu instid0(VALU_DEP_2) | instskip(NEXT) | instid1(VALU_DEP_2)
	v_lshrrev_b32_e32 v117, 16, v128
	v_and_b32_e32 v118, 0x7fff, v119
	s_delay_alu instid0(VALU_DEP_2) | instskip(NEXT) | instid1(VALU_DEP_2)
	v_and_b32_e32 v16, 0x7fff, v117
	v_cmp_gt_u16_e64 s12, 0x7c01, v118
	s_delay_alu instid0(VALU_DEP_2) | instskip(SKIP_2) | instid1(VALU_DEP_3)
	v_cmp_lt_u16_e64 s11, 0x7c00, v16
	v_mov_b32_e32 v16, v17
	v_perm_b32 v17, v12, v128, 0x7060302
                                        ; implicit-def: $vgpr12
	s_and_b32 s28, s11, s12
	s_delay_alu instid0(SALU_CYCLE_1)
	s_xor_b32 s28, s28, -1
	s_cbranch_vccnz .LBB4_306
; %bb.301:                              ;   in Loop: Header=BB4_144 Depth=2
	v_mov_b32_e32 v12, v119
	s_and_saveexec_b32 s29, s28
	s_cbranch_execz .LBB4_305
; %bb.302:                              ;   in Loop: Header=BB4_144 Depth=2
	v_mov_b32_e32 v12, v117
	s_or_b32 s13, s11, s12
	s_delay_alu instid0(SALU_CYCLE_1)
	s_and_saveexec_b32 vcc_hi, s13
; %bb.303:                              ;   in Loop: Header=BB4_144 Depth=2
	v_lshrrev_b32_e32 v12, 16, v17
	v_cmp_lt_u16_e32 vcc_lo, 0x7c00, v118
	s_delay_alu instid0(VALU_DEP_2) | instskip(NEXT) | instid1(VALU_DEP_1)
	v_cmp_gt_f16_e64 s13, v17, v12
	v_cndmask_b32_e64 v12, v12, v17, s13
	s_and_b32 s13, s11, vcc_lo
	s_delay_alu instid0(VALU_DEP_1) | instid1(SALU_CYCLE_1)
	v_cndmask_b32_e64 v12, v12, 0x7fff, s13
; %bb.304:                              ;   in Loop: Header=BB4_144 Depth=2
	s_or_b32 exec_lo, exec_lo, vcc_hi
.LBB4_305:                              ;   in Loop: Header=BB4_144 Depth=2
	s_delay_alu instid0(SALU_CYCLE_1)
	s_or_b32 exec_lo, exec_lo, s29
	s_mov_b32 s13, 0
.LBB4_306:                              ;   in Loop: Header=BB4_144 Depth=2
	s_delay_alu instid0(SALU_CYCLE_1)
	s_and_not1_b32 vcc_lo, exec_lo, s13
	s_cbranch_vccnz .LBB4_312
; %bb.307:                              ;   in Loop: Header=BB4_144 Depth=2
	s_and_saveexec_b32 s13, s28
	s_cbranch_execz .LBB4_311
; %bb.308:                              ;   in Loop: Header=BB4_144 Depth=2
	s_or_b32 s12, s11, s12
	s_delay_alu instid0(SALU_CYCLE_1)
	s_and_saveexec_b32 s28, s12
; %bb.309:                              ;   in Loop: Header=BB4_144 Depth=2
	v_lshrrev_b32_e32 v12, 16, v17
	v_cmp_lt_u16_e32 vcc_lo, 0x7c00, v118
	s_delay_alu instid0(VALU_DEP_2) | instskip(SKIP_1) | instid1(VALU_DEP_1)
	v_cmp_gt_f16_e64 s12, v17, v12
	s_and_b32 s11, s11, vcc_lo
	v_cndmask_b32_e64 v12, v17, v12, s12
	s_delay_alu instid0(VALU_DEP_1)
	v_cndmask_b32_e64 v117, v12, 0x7fff, s11
; %bb.310:                              ;   in Loop: Header=BB4_144 Depth=2
	s_or_b32 exec_lo, exec_lo, s28
	s_delay_alu instid0(VALU_DEP_1)
	v_mov_b32_e32 v119, v117
.LBB4_311:                              ;   in Loop: Header=BB4_144 Depth=2
	s_or_b32 exec_lo, exec_lo, s13
	s_delay_alu instid0(VALU_DEP_1)
	v_mov_b32_e32 v12, v119
.LBB4_312:                              ;   in Loop: Header=BB4_144 Depth=2
	v_and_b32_e32 v17, 0x7fff, v16
	v_and_b32_e32 v117, 0x7fff, v13
	v_perm_b32 v118, v13, v16, 0x5040100
	s_mov_b32 s13, -1
	s_and_not1_b32 vcc_lo, exec_lo, s27
	v_cmp_lt_u16_e64 s11, 0x7c00, v17
	v_cmp_gt_u16_e64 s12, 0x7c01, v117
                                        ; implicit-def: $vgpr17
	s_delay_alu instid0(VALU_DEP_1) | instskip(NEXT) | instid1(SALU_CYCLE_1)
	s_and_b32 s28, s11, s12
	s_xor_b32 s28, s28, -1
	s_cbranch_vccnz .LBB4_318
; %bb.313:                              ;   in Loop: Header=BB4_144 Depth=2
	v_mov_b32_e32 v17, v13
	s_and_saveexec_b32 s29, s28
	s_cbranch_execz .LBB4_317
; %bb.314:                              ;   in Loop: Header=BB4_144 Depth=2
	v_mov_b32_e32 v17, v16
	s_or_b32 s13, s11, s12
	s_delay_alu instid0(SALU_CYCLE_1)
	s_and_saveexec_b32 vcc_hi, s13
; %bb.315:                              ;   in Loop: Header=BB4_144 Depth=2
	v_lshrrev_b32_e32 v17, 16, v118
	v_cmp_lt_u16_e32 vcc_lo, 0x7c00, v117
	s_delay_alu instid0(VALU_DEP_2) | instskip(NEXT) | instid1(VALU_DEP_1)
	v_cmp_gt_f16_e64 s13, v118, v17
	v_cndmask_b32_e64 v17, v17, v118, s13
	s_and_b32 s13, s11, vcc_lo
	s_delay_alu instid0(VALU_DEP_1) | instid1(SALU_CYCLE_1)
	v_cndmask_b32_e64 v17, v17, 0x7fff, s13
; %bb.316:                              ;   in Loop: Header=BB4_144 Depth=2
	s_or_b32 exec_lo, exec_lo, vcc_hi
.LBB4_317:                              ;   in Loop: Header=BB4_144 Depth=2
	s_delay_alu instid0(SALU_CYCLE_1)
	s_or_b32 exec_lo, exec_lo, s29
	s_mov_b32 s13, 0
.LBB4_318:                              ;   in Loop: Header=BB4_144 Depth=2
	s_delay_alu instid0(SALU_CYCLE_1)
	s_and_not1_b32 vcc_lo, exec_lo, s13
	s_cbranch_vccnz .LBB4_324
; %bb.319:                              ;   in Loop: Header=BB4_144 Depth=2
	v_mov_b32_e32 v17, v13
	s_and_saveexec_b32 s13, s28
	s_cbranch_execz .LBB4_323
; %bb.320:                              ;   in Loop: Header=BB4_144 Depth=2
	v_mov_b32_e32 v17, v16
	s_or_b32 s12, s11, s12
	s_delay_alu instid0(SALU_CYCLE_1)
	s_and_saveexec_b32 s28, s12
; %bb.321:                              ;   in Loop: Header=BB4_144 Depth=2
	v_lshrrev_b32_e32 v17, 16, v118
	v_cmp_lt_u16_e32 vcc_lo, 0x7c00, v117
	s_delay_alu instid0(VALU_DEP_2) | instskip(SKIP_1) | instid1(VALU_DEP_1)
	v_cmp_gt_f16_e64 s12, v118, v17
	s_and_b32 s11, s11, vcc_lo
	v_cndmask_b32_e64 v17, v118, v17, s12
	s_delay_alu instid0(VALU_DEP_1)
	v_cndmask_b32_e64 v17, v17, 0x7fff, s11
; %bb.322:                              ;   in Loop: Header=BB4_144 Depth=2
	s_or_b32 exec_lo, exec_lo, s28
.LBB4_323:                              ;   in Loop: Header=BB4_144 Depth=2
	s_delay_alu instid0(SALU_CYCLE_1)
	s_or_b32 exec_lo, exec_lo, s13
.LBB4_324:                              ;   in Loop: Header=BB4_144 Depth=2
	v_lshrrev_b32_e32 v117, 16, v16
	v_lshrrev_b32_e32 v119, 16, v13
	v_perm_b32 v13, v13, v16, 0x7060302
	s_mov_b32 s13, -1
	s_and_not1_b32 vcc_lo, exec_lo, s27
	v_and_b32_e32 v128, 0x7fff, v117
	v_and_b32_e32 v118, 0x7fff, v119
                                        ; implicit-def: $vgpr16
	s_delay_alu instid0(VALU_DEP_2) | instskip(NEXT) | instid1(VALU_DEP_2)
	v_cmp_lt_u16_e64 s11, 0x7c00, v128
	v_cmp_gt_u16_e64 s12, 0x7c01, v118
	s_delay_alu instid0(VALU_DEP_1) | instskip(NEXT) | instid1(SALU_CYCLE_1)
	s_and_b32 s28, s11, s12
	s_xor_b32 s28, s28, -1
	s_cbranch_vccnz .LBB4_330
; %bb.325:                              ;   in Loop: Header=BB4_144 Depth=2
	v_mov_b32_e32 v16, v119
	s_and_saveexec_b32 s29, s28
	s_cbranch_execz .LBB4_329
; %bb.326:                              ;   in Loop: Header=BB4_144 Depth=2
	v_mov_b32_e32 v16, v117
	s_or_b32 s13, s11, s12
	s_delay_alu instid0(SALU_CYCLE_1)
	s_and_saveexec_b32 vcc_hi, s13
; %bb.327:                              ;   in Loop: Header=BB4_144 Depth=2
	v_lshrrev_b32_e32 v16, 16, v13
	v_cmp_lt_u16_e32 vcc_lo, 0x7c00, v118
	s_delay_alu instid0(VALU_DEP_2) | instskip(NEXT) | instid1(VALU_DEP_1)
	v_cmp_gt_f16_e64 s13, v13, v16
	v_cndmask_b32_e64 v16, v16, v13, s13
	s_and_b32 s13, s11, vcc_lo
	s_delay_alu instid0(VALU_DEP_1) | instid1(SALU_CYCLE_1)
	v_cndmask_b32_e64 v16, v16, 0x7fff, s13
; %bb.328:                              ;   in Loop: Header=BB4_144 Depth=2
	s_or_b32 exec_lo, exec_lo, vcc_hi
.LBB4_329:                              ;   in Loop: Header=BB4_144 Depth=2
	s_delay_alu instid0(SALU_CYCLE_1)
	s_or_b32 exec_lo, exec_lo, s29
	s_mov_b32 s13, 0
.LBB4_330:                              ;   in Loop: Header=BB4_144 Depth=2
	s_delay_alu instid0(SALU_CYCLE_1)
	s_and_not1_b32 vcc_lo, exec_lo, s13
	s_cbranch_vccnz .LBB4_143
; %bb.331:                              ;   in Loop: Header=BB4_144 Depth=2
	s_and_saveexec_b32 s13, s28
	s_cbranch_execz .LBB4_142
; %bb.332:                              ;   in Loop: Header=BB4_144 Depth=2
	s_or_b32 s12, s11, s12
	s_delay_alu instid0(SALU_CYCLE_1)
	s_and_saveexec_b32 s28, s12
	s_cbranch_execz .LBB4_141
; %bb.333:                              ;   in Loop: Header=BB4_144 Depth=2
	v_lshrrev_b32_e32 v16, 16, v13
	v_cmp_lt_u16_e32 vcc_lo, 0x7c00, v118
	s_delay_alu instid0(VALU_DEP_2) | instskip(SKIP_1) | instid1(VALU_DEP_1)
	v_cmp_gt_f16_e64 s12, v13, v16
	s_and_b32 s11, s11, vcc_lo
	v_cndmask_b32_e64 v13, v13, v16, s12
	s_delay_alu instid0(VALU_DEP_1)
	v_cndmask_b32_e64 v117, v13, 0x7fff, s11
	s_branch .LBB4_141
.LBB4_334:                              ;   in Loop: Header=BB4_53 Depth=1
	s_or_b32 exec_lo, exec_lo, s26
.LBB4_335:                              ;   in Loop: Header=BB4_53 Depth=1
	s_delay_alu instid0(SALU_CYCLE_1) | instskip(SKIP_4) | instid1(VALU_DEP_2)
	s_or_b32 exec_lo, exec_lo, s14
	v_lshlrev_b32_e32 v24, 10, v115
	v_mov_b32_e32 v16, 0
	s_mov_b32 s11, 0
	s_mov_b32 s26, exec_lo
                                        ; implicit-def: $vgpr17
                                        ; implicit-def: $vgpr10
	v_cmpx_ne_u32_e64 v113, v24
	s_cbranch_execz .LBB4_440
; %bb.336:                              ;   in Loop: Header=BB4_53 Depth=1
	v_lshlrev_b32_e32 v10, 5, v114
	v_sub_nc_u32_e32 v12, v113, v24
	s_mov_b32 s27, exec_lo
	s_delay_alu instid0(VALU_DEP_2) | instskip(NEXT) | instid1(VALU_DEP_2)
	v_sub_nc_u32_e32 v10, v85, v10
	v_ashrrev_i32_e32 v13, 31, v12
	s_delay_alu instid0(VALU_DEP_2) | instskip(NEXT) | instid1(VALU_DEP_2)
	v_ashrrev_i32_e32 v11, 31, v10
	v_lshrrev_b32_e32 v13, 23, v13
	s_delay_alu instid0(VALU_DEP_2) | instskip(NEXT) | instid1(VALU_DEP_2)
	v_lshrrev_b32_e32 v11, 27, v11
	v_add_nc_u32_e32 v13, v12, v13
	s_delay_alu instid0(VALU_DEP_2) | instskip(NEXT) | instid1(VALU_DEP_2)
	v_add_nc_u32_e32 v11, v10, v11
	v_and_b32_e32 v25, 0xfffffe00, v13
	v_ashrrev_i32_e32 v13, 9, v13
	s_delay_alu instid0(VALU_DEP_3) | instskip(NEXT) | instid1(VALU_DEP_3)
	v_and_b32_e32 v14, 0xffffffe0, v11
	v_sub_nc_u32_e32 v67, v12, v25
	v_ashrrev_i32_e32 v11, 5, v11
	s_delay_alu instid0(VALU_DEP_3) | instskip(NEXT) | instid1(VALU_DEP_3)
	v_sub_nc_u32_e32 v66, v10, v14
	v_cmp_lt_i32_e64 s11, 15, v67
	s_delay_alu instid0(VALU_DEP_2) | instskip(NEXT) | instid1(VALU_DEP_2)
	v_lshlrev_b32_e32 v10, 4, v66
	v_add_co_ci_u32_e64 v13, vcc_lo, 0, v13, s11
	s_delay_alu instid0(VALU_DEP_2) | instskip(NEXT) | instid1(VALU_DEP_2)
	v_lshl_add_u32 v10, v11, 9, v10
	v_sub_nc_u32_e32 v68, v13, v11
	s_delay_alu instid0(VALU_DEP_2) | instskip(NEXT) | instid1(VALU_DEP_1)
	v_sub_nc_u32_e32 v69, v12, v10
	v_cmpx_lt_i32_e32 15, v69
	s_cbranch_execz .LBB4_437
; %bb.337:                              ;   in Loop: Header=BB4_53 Depth=1
	s_cbranch_execnz .LBB4_1710
; %bb.338:                              ;   in Loop: Header=BB4_53 Depth=1
	ds_load_b128 v[11:14], v0
	ds_load_b64 v[15:16], v0
	v_add_nc_u32_e32 v10, v10, v24
	s_bitcmp1_b32 s25, 0
	s_mov_b32 s28, 0
	s_cselect_b32 s29, -1, 0
	s_delay_alu instid0(VALU_DEP_1) | instskip(SKIP_2) | instid1(VALU_DEP_2)
	v_ashrrev_i32_e32 v17, 31, v10
	s_waitcnt lgkmcnt(1)
	v_add_co_u32 v18, vcc_lo, v11, v10
	v_add_co_ci_u32_e32 v19, vcc_lo, v12, v17, vcc_lo
	v_add_co_u32 v20, vcc_lo, v13, v10
	v_add_co_ci_u32_e32 v21, vcc_lo, v14, v17, vcc_lo
	s_waitcnt lgkmcnt(0)
	v_add_co_u32 v22, vcc_lo, v15, v10
	v_add_co_ci_u32_e32 v23, vcc_lo, v16, v17, vcc_lo
	s_branch .LBB4_342
.LBB4_339:                              ;   in Loop: Header=BB4_342 Depth=2
	s_or_b32 exec_lo, exec_lo, vcc_hi
	s_delay_alu instid0(VALU_DEP_1)
	v_mov_b32_e32 v115, v71
.LBB4_340:                              ;   in Loop: Header=BB4_342 Depth=2
	s_or_b32 exec_lo, exec_lo, s14
	s_delay_alu instid0(VALU_DEP_1)
	v_mov_b32_e32 v17, v115
.LBB4_341:                              ;   in Loop: Header=BB4_342 Depth=2
	v_lshlrev_b32_e32 v10, 16, v10
	v_and_b32_e32 v13, 0xffff, v70
	v_lshlrev_b32_e32 v16, 16, v16
	v_and_b32_e32 v15, 0xffff, v15
	;; [unrolled: 2-line block ×3, first 2 shown]
	v_or_b32_e32 v10, v10, v13
	v_lshlrev_b32_e32 v13, 16, v17
	v_and_b32_e32 v12, 0xffff, v12
	v_or_b32_e32 v15, v16, v15
	v_add_co_u32 v18, vcc_lo, v18, v99
	v_or3_b32 v11, v14, v11, 0
	v_or3_b32 v10, 0, 0, v10
	v_or3_b32 v13, v13, v12, 0
	v_or3_b32 v12, 0, 0, v15
	v_sub_nc_u32_e32 v69, v69, v84
	v_add_co_ci_u32_e32 v19, vcc_lo, v19, v100, vcc_lo
	v_add_co_u32 v20, vcc_lo, v20, v99
	v_add_co_ci_u32_e32 v21, vcc_lo, v21, v100, vcc_lo
	global_store_b128 v[22:23], v[10:13], off glc slc dlc
	v_cmp_gt_i32_e32 vcc_lo, 16, v69
	v_add_co_u32 v22, s12, v22, v99
	s_delay_alu instid0(VALU_DEP_1) | instskip(SKIP_2) | instid1(SALU_CYCLE_1)
	v_add_co_ci_u32_e64 v23, s12, v23, v100, s12
	v_sub_nc_u32_e32 v68, v68, v82
	s_or_b32 s28, vcc_lo, s28
	s_and_not1_b32 exec_lo, exec_lo, s28
	s_cbranch_execz .LBB4_436
.LBB4_342:                              ;   Parent Loop BB4_53 Depth=1
                                        ; =>  This Inner Loop Header: Depth=2
	global_load_b128 v[14:17], v[18:19], off slc dlc
	global_load_b128 v[10:13], v[20:21], off slc dlc
	s_mov_b32 s14, -1
	s_and_b32 vcc_lo, exec_lo, s29
	s_waitcnt vmcnt(1)
	v_and_b32_e32 v70, 0x7fff, v14
	s_waitcnt vmcnt(0)
	v_and_b32_e32 v71, 0x7fff, v10
	v_perm_b32 v114, v10, v14, 0x5040100
	s_delay_alu instid0(VALU_DEP_3) | instskip(NEXT) | instid1(VALU_DEP_3)
	v_cmp_lt_u16_e64 s12, 0x7c00, v70
	v_cmp_gt_u16_e64 s13, 0x7c01, v71
                                        ; implicit-def: $vgpr70
	s_delay_alu instid0(VALU_DEP_1) | instskip(NEXT) | instid1(SALU_CYCLE_1)
	s_and_b32 vcc_hi, s12, s13
	s_xor_b32 vcc_hi, vcc_hi, -1
	s_cbranch_vccz .LBB4_348
; %bb.343:                              ;   in Loop: Header=BB4_342 Depth=2
	v_mov_b32_e32 v70, v10
	s_and_saveexec_b32 s30, vcc_hi
	s_cbranch_execz .LBB4_347
; %bb.344:                              ;   in Loop: Header=BB4_342 Depth=2
	v_mov_b32_e32 v70, v14
	s_or_b32 s14, s12, s13
	s_delay_alu instid0(SALU_CYCLE_1)
	s_and_saveexec_b32 s31, s14
; %bb.345:                              ;   in Loop: Header=BB4_342 Depth=2
	v_lshrrev_b32_e32 v70, 16, v114
	v_cmp_lt_u16_e32 vcc_lo, 0x7c00, v71
	s_delay_alu instid0(VALU_DEP_2) | instskip(NEXT) | instid1(VALU_DEP_1)
	v_cmp_gt_f16_e64 s14, v114, v70
	v_cndmask_b32_e64 v70, v70, v114, s14
	s_and_b32 s14, s12, vcc_lo
	s_delay_alu instid0(VALU_DEP_1) | instid1(SALU_CYCLE_1)
	v_cndmask_b32_e64 v70, v70, 0x7fff, s14
; %bb.346:                              ;   in Loop: Header=BB4_342 Depth=2
	s_or_b32 exec_lo, exec_lo, s31
.LBB4_347:                              ;   in Loop: Header=BB4_342 Depth=2
	s_delay_alu instid0(SALU_CYCLE_1)
	s_or_b32 exec_lo, exec_lo, s30
	s_mov_b32 s14, 0
.LBB4_348:                              ;   in Loop: Header=BB4_342 Depth=2
	s_delay_alu instid0(SALU_CYCLE_1)
	s_and_not1_b32 vcc_lo, exec_lo, s14
	s_cbranch_vccnz .LBB4_354
; %bb.349:                              ;   in Loop: Header=BB4_342 Depth=2
	v_mov_b32_e32 v70, v10
	s_and_saveexec_b32 s14, vcc_hi
	s_cbranch_execz .LBB4_353
; %bb.350:                              ;   in Loop: Header=BB4_342 Depth=2
	v_mov_b32_e32 v70, v14
	s_or_b32 s13, s12, s13
	s_delay_alu instid0(SALU_CYCLE_1)
	s_and_saveexec_b32 vcc_hi, s13
; %bb.351:                              ;   in Loop: Header=BB4_342 Depth=2
	v_lshrrev_b32_e32 v70, 16, v114
	v_cmp_lt_u16_e32 vcc_lo, 0x7c00, v71
	s_delay_alu instid0(VALU_DEP_2) | instskip(SKIP_1) | instid1(VALU_DEP_1)
	v_cmp_gt_f16_e64 s13, v114, v70
	s_and_b32 s12, s12, vcc_lo
	v_cndmask_b32_e64 v70, v114, v70, s13
	s_delay_alu instid0(VALU_DEP_1)
	v_cndmask_b32_e64 v70, v70, 0x7fff, s12
; %bb.352:                              ;   in Loop: Header=BB4_342 Depth=2
	s_or_b32 exec_lo, exec_lo, vcc_hi
.LBB4_353:                              ;   in Loop: Header=BB4_342 Depth=2
	s_delay_alu instid0(SALU_CYCLE_1)
	s_or_b32 exec_lo, exec_lo, s14
.LBB4_354:                              ;   in Loop: Header=BB4_342 Depth=2
	v_mov_b32_e32 v116, v14
	v_mov_b32_e32 v14, v15
	;; [unrolled: 1-line block ×3, first 2 shown]
	s_mov_b32 s14, -1
	s_and_b32 vcc_lo, exec_lo, s29
	v_lshrrev_b32_e32 v71, 16, v116
	s_delay_alu instid0(VALU_DEP_1) | instskip(NEXT) | instid1(VALU_DEP_1)
	v_dual_mov_b32 v117, v10 :: v_dual_and_b32 v10, 0x7fff, v71
	v_lshrrev_b32_e32 v115, 16, v117
	v_perm_b32 v11, v117, v116, 0x7060302
	s_delay_alu instid0(VALU_DEP_3) | instskip(NEXT) | instid1(VALU_DEP_3)
	v_cmp_lt_u16_e64 s12, 0x7c00, v10
	v_and_b32_e32 v114, 0x7fff, v115
                                        ; implicit-def: $vgpr10
	s_delay_alu instid0(VALU_DEP_1) | instskip(NEXT) | instid1(VALU_DEP_1)
	v_cmp_gt_u16_e64 s13, 0x7c01, v114
	s_and_b32 vcc_hi, s12, s13
	s_delay_alu instid0(SALU_CYCLE_1)
	s_xor_b32 vcc_hi, vcc_hi, -1
	s_cbranch_vccz .LBB4_360
; %bb.355:                              ;   in Loop: Header=BB4_342 Depth=2
	v_mov_b32_e32 v10, v115
	s_and_saveexec_b32 s30, vcc_hi
	s_cbranch_execz .LBB4_359
; %bb.356:                              ;   in Loop: Header=BB4_342 Depth=2
	v_mov_b32_e32 v10, v71
	s_or_b32 s14, s12, s13
	s_delay_alu instid0(SALU_CYCLE_1)
	s_and_saveexec_b32 s31, s14
; %bb.357:                              ;   in Loop: Header=BB4_342 Depth=2
	v_lshrrev_b32_e32 v10, 16, v11
	v_cmp_lt_u16_e32 vcc_lo, 0x7c00, v114
	s_delay_alu instid0(VALU_DEP_2) | instskip(NEXT) | instid1(VALU_DEP_1)
	v_cmp_gt_f16_e64 s14, v11, v10
	v_cndmask_b32_e64 v10, v10, v11, s14
	s_and_b32 s14, s12, vcc_lo
	s_delay_alu instid0(VALU_DEP_1) | instid1(SALU_CYCLE_1)
	v_cndmask_b32_e64 v10, v10, 0x7fff, s14
; %bb.358:                              ;   in Loop: Header=BB4_342 Depth=2
	s_or_b32 exec_lo, exec_lo, s31
.LBB4_359:                              ;   in Loop: Header=BB4_342 Depth=2
	s_delay_alu instid0(SALU_CYCLE_1)
	s_or_b32 exec_lo, exec_lo, s30
	s_mov_b32 s14, 0
.LBB4_360:                              ;   in Loop: Header=BB4_342 Depth=2
	s_delay_alu instid0(SALU_CYCLE_1)
	s_and_not1_b32 vcc_lo, exec_lo, s14
	s_cbranch_vccnz .LBB4_366
; %bb.361:                              ;   in Loop: Header=BB4_342 Depth=2
	s_and_saveexec_b32 s14, vcc_hi
	s_cbranch_execz .LBB4_365
; %bb.362:                              ;   in Loop: Header=BB4_342 Depth=2
	s_or_b32 s13, s12, s13
	s_delay_alu instid0(SALU_CYCLE_1)
	s_and_saveexec_b32 vcc_hi, s13
; %bb.363:                              ;   in Loop: Header=BB4_342 Depth=2
	v_lshrrev_b32_e32 v10, 16, v11
	v_cmp_lt_u16_e32 vcc_lo, 0x7c00, v114
	s_delay_alu instid0(VALU_DEP_2) | instskip(SKIP_1) | instid1(VALU_DEP_1)
	v_cmp_gt_f16_e64 s13, v11, v10
	s_and_b32 s12, s12, vcc_lo
	v_cndmask_b32_e64 v10, v11, v10, s13
	s_delay_alu instid0(VALU_DEP_1)
	v_cndmask_b32_e64 v71, v10, 0x7fff, s12
; %bb.364:                              ;   in Loop: Header=BB4_342 Depth=2
	s_or_b32 exec_lo, exec_lo, vcc_hi
	s_delay_alu instid0(VALU_DEP_1)
	v_mov_b32_e32 v115, v71
.LBB4_365:                              ;   in Loop: Header=BB4_342 Depth=2
	s_or_b32 exec_lo, exec_lo, s14
	s_delay_alu instid0(VALU_DEP_1)
	v_mov_b32_e32 v10, v115
.LBB4_366:                              ;   in Loop: Header=BB4_342 Depth=2
	v_and_b32_e32 v11, 0x7fff, v14
	v_and_b32_e32 v71, 0x7fff, v15
	v_perm_b32 v114, v15, v14, 0x5040100
	s_mov_b32 s14, -1
	s_and_b32 vcc_lo, exec_lo, s29
	v_cmp_lt_u16_e64 s12, 0x7c00, v11
	v_cmp_gt_u16_e64 s13, 0x7c01, v71
                                        ; implicit-def: $vgpr11
	s_delay_alu instid0(VALU_DEP_1) | instskip(NEXT) | instid1(SALU_CYCLE_1)
	s_and_b32 vcc_hi, s12, s13
	s_xor_b32 vcc_hi, vcc_hi, -1
	s_cbranch_vccz .LBB4_372
; %bb.367:                              ;   in Loop: Header=BB4_342 Depth=2
	v_mov_b32_e32 v11, v15
	s_and_saveexec_b32 s30, vcc_hi
	s_cbranch_execz .LBB4_371
; %bb.368:                              ;   in Loop: Header=BB4_342 Depth=2
	v_mov_b32_e32 v11, v14
	s_or_b32 s14, s12, s13
	s_delay_alu instid0(SALU_CYCLE_1)
	s_and_saveexec_b32 s31, s14
; %bb.369:                              ;   in Loop: Header=BB4_342 Depth=2
	v_lshrrev_b32_e32 v11, 16, v114
	v_cmp_lt_u16_e32 vcc_lo, 0x7c00, v71
	s_delay_alu instid0(VALU_DEP_2) | instskip(NEXT) | instid1(VALU_DEP_1)
	v_cmp_gt_f16_e64 s14, v114, v11
	v_cndmask_b32_e64 v11, v11, v114, s14
	s_and_b32 s14, s12, vcc_lo
	s_delay_alu instid0(VALU_DEP_1) | instid1(SALU_CYCLE_1)
	v_cndmask_b32_e64 v11, v11, 0x7fff, s14
; %bb.370:                              ;   in Loop: Header=BB4_342 Depth=2
	s_or_b32 exec_lo, exec_lo, s31
.LBB4_371:                              ;   in Loop: Header=BB4_342 Depth=2
	s_delay_alu instid0(SALU_CYCLE_1)
	s_or_b32 exec_lo, exec_lo, s30
	s_mov_b32 s14, 0
.LBB4_372:                              ;   in Loop: Header=BB4_342 Depth=2
	s_delay_alu instid0(SALU_CYCLE_1)
	s_and_not1_b32 vcc_lo, exec_lo, s14
	s_cbranch_vccnz .LBB4_378
; %bb.373:                              ;   in Loop: Header=BB4_342 Depth=2
	v_mov_b32_e32 v11, v15
	s_and_saveexec_b32 s14, vcc_hi
	s_cbranch_execz .LBB4_377
; %bb.374:                              ;   in Loop: Header=BB4_342 Depth=2
	v_mov_b32_e32 v11, v14
	s_or_b32 s13, s12, s13
	s_delay_alu instid0(SALU_CYCLE_1)
	s_and_saveexec_b32 vcc_hi, s13
; %bb.375:                              ;   in Loop: Header=BB4_342 Depth=2
	v_lshrrev_b32_e32 v11, 16, v114
	v_cmp_lt_u16_e32 vcc_lo, 0x7c00, v71
	s_delay_alu instid0(VALU_DEP_2) | instskip(SKIP_1) | instid1(VALU_DEP_1)
	v_cmp_gt_f16_e64 s13, v114, v11
	s_and_b32 s12, s12, vcc_lo
	v_cndmask_b32_e64 v11, v114, v11, s13
	s_delay_alu instid0(VALU_DEP_1)
	v_cndmask_b32_e64 v11, v11, 0x7fff, s12
; %bb.376:                              ;   in Loop: Header=BB4_342 Depth=2
	s_or_b32 exec_lo, exec_lo, vcc_hi
.LBB4_377:                              ;   in Loop: Header=BB4_342 Depth=2
	s_delay_alu instid0(SALU_CYCLE_1)
	s_or_b32 exec_lo, exec_lo, s14
.LBB4_378:                              ;   in Loop: Header=BB4_342 Depth=2
	v_lshrrev_b32_e32 v71, 16, v14
	v_lshrrev_b32_e32 v115, 16, v15
	v_perm_b32 v15, v15, v14, 0x7060302
	s_mov_b32 s14, -1
	s_and_b32 vcc_lo, exec_lo, s29
	v_and_b32_e32 v116, 0x7fff, v71
	v_and_b32_e32 v114, 0x7fff, v115
                                        ; implicit-def: $vgpr14
	s_delay_alu instid0(VALU_DEP_2) | instskip(NEXT) | instid1(VALU_DEP_2)
	v_cmp_lt_u16_e64 s12, 0x7c00, v116
	v_cmp_gt_u16_e64 s13, 0x7c01, v114
	s_delay_alu instid0(VALU_DEP_1) | instskip(NEXT) | instid1(SALU_CYCLE_1)
	s_and_b32 vcc_hi, s12, s13
	s_xor_b32 vcc_hi, vcc_hi, -1
	s_cbranch_vccz .LBB4_384
; %bb.379:                              ;   in Loop: Header=BB4_342 Depth=2
	v_mov_b32_e32 v14, v115
	s_and_saveexec_b32 s30, vcc_hi
	s_cbranch_execz .LBB4_383
; %bb.380:                              ;   in Loop: Header=BB4_342 Depth=2
	v_mov_b32_e32 v14, v71
	s_or_b32 s14, s12, s13
	s_delay_alu instid0(SALU_CYCLE_1)
	s_and_saveexec_b32 s31, s14
; %bb.381:                              ;   in Loop: Header=BB4_342 Depth=2
	v_lshrrev_b32_e32 v14, 16, v15
	v_cmp_lt_u16_e32 vcc_lo, 0x7c00, v114
	s_delay_alu instid0(VALU_DEP_2) | instskip(NEXT) | instid1(VALU_DEP_1)
	v_cmp_gt_f16_e64 s14, v15, v14
	v_cndmask_b32_e64 v14, v14, v15, s14
	s_and_b32 s14, s12, vcc_lo
	s_delay_alu instid0(VALU_DEP_1) | instid1(SALU_CYCLE_1)
	v_cndmask_b32_e64 v14, v14, 0x7fff, s14
; %bb.382:                              ;   in Loop: Header=BB4_342 Depth=2
	s_or_b32 exec_lo, exec_lo, s31
.LBB4_383:                              ;   in Loop: Header=BB4_342 Depth=2
	s_delay_alu instid0(SALU_CYCLE_1)
	s_or_b32 exec_lo, exec_lo, s30
	s_mov_b32 s14, 0
.LBB4_384:                              ;   in Loop: Header=BB4_342 Depth=2
	s_delay_alu instid0(SALU_CYCLE_1)
	s_and_not1_b32 vcc_lo, exec_lo, s14
	s_cbranch_vccnz .LBB4_390
; %bb.385:                              ;   in Loop: Header=BB4_342 Depth=2
	s_and_saveexec_b32 s14, vcc_hi
	s_cbranch_execz .LBB4_389
; %bb.386:                              ;   in Loop: Header=BB4_342 Depth=2
	s_or_b32 s13, s12, s13
	s_delay_alu instid0(SALU_CYCLE_1)
	s_and_saveexec_b32 vcc_hi, s13
; %bb.387:                              ;   in Loop: Header=BB4_342 Depth=2
	v_lshrrev_b32_e32 v14, 16, v15
	v_cmp_lt_u16_e32 vcc_lo, 0x7c00, v114
	s_delay_alu instid0(VALU_DEP_2) | instskip(SKIP_1) | instid1(VALU_DEP_1)
	v_cmp_gt_f16_e64 s13, v15, v14
	s_and_b32 s12, s12, vcc_lo
	v_cndmask_b32_e64 v14, v15, v14, s13
	s_delay_alu instid0(VALU_DEP_1)
	v_cndmask_b32_e64 v71, v14, 0x7fff, s12
; %bb.388:                              ;   in Loop: Header=BB4_342 Depth=2
	s_or_b32 exec_lo, exec_lo, vcc_hi
	s_delay_alu instid0(VALU_DEP_1)
	v_mov_b32_e32 v115, v71
.LBB4_389:                              ;   in Loop: Header=BB4_342 Depth=2
	s_or_b32 exec_lo, exec_lo, s14
	s_delay_alu instid0(VALU_DEP_1)
	v_mov_b32_e32 v14, v115
.LBB4_390:                              ;   in Loop: Header=BB4_342 Depth=2
	v_and_b32_e32 v15, 0x7fff, v16
	v_and_b32_e32 v71, 0x7fff, v12
	v_perm_b32 v114, v12, v16, 0x5040100
	s_mov_b32 s14, -1
	s_and_b32 vcc_lo, exec_lo, s29
	v_cmp_lt_u16_e64 s12, 0x7c00, v15
	v_cmp_gt_u16_e64 s13, 0x7c01, v71
                                        ; implicit-def: $vgpr15
	s_delay_alu instid0(VALU_DEP_1) | instskip(NEXT) | instid1(SALU_CYCLE_1)
	s_and_b32 vcc_hi, s12, s13
	s_xor_b32 vcc_hi, vcc_hi, -1
	s_cbranch_vccz .LBB4_396
; %bb.391:                              ;   in Loop: Header=BB4_342 Depth=2
	v_mov_b32_e32 v15, v12
	s_and_saveexec_b32 s30, vcc_hi
	s_cbranch_execz .LBB4_395
; %bb.392:                              ;   in Loop: Header=BB4_342 Depth=2
	v_mov_b32_e32 v15, v16
	s_or_b32 s14, s12, s13
	s_delay_alu instid0(SALU_CYCLE_1)
	s_and_saveexec_b32 s31, s14
; %bb.393:                              ;   in Loop: Header=BB4_342 Depth=2
	v_lshrrev_b32_e32 v15, 16, v114
	v_cmp_lt_u16_e32 vcc_lo, 0x7c00, v71
	s_delay_alu instid0(VALU_DEP_2) | instskip(NEXT) | instid1(VALU_DEP_1)
	v_cmp_gt_f16_e64 s14, v114, v15
	v_cndmask_b32_e64 v15, v15, v114, s14
	s_and_b32 s14, s12, vcc_lo
	s_delay_alu instid0(VALU_DEP_1) | instid1(SALU_CYCLE_1)
	v_cndmask_b32_e64 v15, v15, 0x7fff, s14
; %bb.394:                              ;   in Loop: Header=BB4_342 Depth=2
	s_or_b32 exec_lo, exec_lo, s31
.LBB4_395:                              ;   in Loop: Header=BB4_342 Depth=2
	s_delay_alu instid0(SALU_CYCLE_1)
	s_or_b32 exec_lo, exec_lo, s30
	s_mov_b32 s14, 0
.LBB4_396:                              ;   in Loop: Header=BB4_342 Depth=2
	s_delay_alu instid0(SALU_CYCLE_1)
	s_and_not1_b32 vcc_lo, exec_lo, s14
	s_cbranch_vccnz .LBB4_402
; %bb.397:                              ;   in Loop: Header=BB4_342 Depth=2
	v_mov_b32_e32 v15, v12
	s_and_saveexec_b32 s14, vcc_hi
	s_cbranch_execz .LBB4_401
; %bb.398:                              ;   in Loop: Header=BB4_342 Depth=2
	v_mov_b32_e32 v15, v16
	s_or_b32 s13, s12, s13
	s_delay_alu instid0(SALU_CYCLE_1)
	s_and_saveexec_b32 vcc_hi, s13
; %bb.399:                              ;   in Loop: Header=BB4_342 Depth=2
	v_lshrrev_b32_e32 v15, 16, v114
	v_cmp_lt_u16_e32 vcc_lo, 0x7c00, v71
	s_delay_alu instid0(VALU_DEP_2) | instskip(SKIP_1) | instid1(VALU_DEP_1)
	v_cmp_gt_f16_e64 s13, v114, v15
	s_and_b32 s12, s12, vcc_lo
	v_cndmask_b32_e64 v15, v114, v15, s13
	s_delay_alu instid0(VALU_DEP_1)
	v_cndmask_b32_e64 v15, v15, 0x7fff, s12
; %bb.400:                              ;   in Loop: Header=BB4_342 Depth=2
	s_or_b32 exec_lo, exec_lo, vcc_hi
.LBB4_401:                              ;   in Loop: Header=BB4_342 Depth=2
	s_delay_alu instid0(SALU_CYCLE_1)
	s_or_b32 exec_lo, exec_lo, s14
.LBB4_402:                              ;   in Loop: Header=BB4_342 Depth=2
	v_mov_b32_e32 v116, v16
	v_lshrrev_b32_e32 v115, 16, v12
	s_mov_b32 s14, -1
	s_and_b32 vcc_lo, exec_lo, s29
	s_delay_alu instid0(VALU_DEP_2) | instskip(NEXT) | instid1(VALU_DEP_2)
	v_lshrrev_b32_e32 v71, 16, v116
	v_and_b32_e32 v114, 0x7fff, v115
	v_perm_b32 v12, v12, v116, 0x7060302
	s_delay_alu instid0(VALU_DEP_3) | instskip(NEXT) | instid1(VALU_DEP_3)
	v_and_b32_e32 v16, 0x7fff, v71
	v_cmp_gt_u16_e64 s13, 0x7c01, v114
	s_delay_alu instid0(VALU_DEP_2) | instskip(NEXT) | instid1(VALU_DEP_1)
	v_cmp_lt_u16_e64 s12, 0x7c00, v16
                                        ; implicit-def: $vgpr16
	s_and_b32 vcc_hi, s12, s13
	s_delay_alu instid0(SALU_CYCLE_1)
	s_xor_b32 vcc_hi, vcc_hi, -1
	s_cbranch_vccz .LBB4_408
; %bb.403:                              ;   in Loop: Header=BB4_342 Depth=2
	v_mov_b32_e32 v16, v115
	s_and_saveexec_b32 s30, vcc_hi
	s_cbranch_execz .LBB4_407
; %bb.404:                              ;   in Loop: Header=BB4_342 Depth=2
	v_mov_b32_e32 v16, v71
	s_or_b32 s14, s12, s13
	s_delay_alu instid0(SALU_CYCLE_1)
	s_and_saveexec_b32 s31, s14
; %bb.405:                              ;   in Loop: Header=BB4_342 Depth=2
	v_lshrrev_b32_e32 v16, 16, v12
	v_cmp_lt_u16_e32 vcc_lo, 0x7c00, v114
	s_delay_alu instid0(VALU_DEP_2) | instskip(NEXT) | instid1(VALU_DEP_1)
	v_cmp_gt_f16_e64 s14, v12, v16
	v_cndmask_b32_e64 v16, v16, v12, s14
	s_and_b32 s14, s12, vcc_lo
	s_delay_alu instid0(VALU_DEP_1) | instid1(SALU_CYCLE_1)
	v_cndmask_b32_e64 v16, v16, 0x7fff, s14
; %bb.406:                              ;   in Loop: Header=BB4_342 Depth=2
	s_or_b32 exec_lo, exec_lo, s31
.LBB4_407:                              ;   in Loop: Header=BB4_342 Depth=2
	s_delay_alu instid0(SALU_CYCLE_1)
	s_or_b32 exec_lo, exec_lo, s30
	s_mov_b32 s14, 0
.LBB4_408:                              ;   in Loop: Header=BB4_342 Depth=2
	s_delay_alu instid0(SALU_CYCLE_1)
	s_and_not1_b32 vcc_lo, exec_lo, s14
	s_cbranch_vccnz .LBB4_414
; %bb.409:                              ;   in Loop: Header=BB4_342 Depth=2
	s_and_saveexec_b32 s14, vcc_hi
	s_cbranch_execz .LBB4_413
; %bb.410:                              ;   in Loop: Header=BB4_342 Depth=2
	s_or_b32 s13, s12, s13
	s_delay_alu instid0(SALU_CYCLE_1)
	s_and_saveexec_b32 vcc_hi, s13
; %bb.411:                              ;   in Loop: Header=BB4_342 Depth=2
	v_lshrrev_b32_e32 v16, 16, v12
	v_cmp_lt_u16_e32 vcc_lo, 0x7c00, v114
	s_delay_alu instid0(VALU_DEP_2) | instskip(SKIP_1) | instid1(VALU_DEP_1)
	v_cmp_gt_f16_e64 s13, v12, v16
	s_and_b32 s12, s12, vcc_lo
	v_cndmask_b32_e64 v12, v12, v16, s13
	s_delay_alu instid0(VALU_DEP_1)
	v_cndmask_b32_e64 v71, v12, 0x7fff, s12
; %bb.412:                              ;   in Loop: Header=BB4_342 Depth=2
	s_or_b32 exec_lo, exec_lo, vcc_hi
	s_delay_alu instid0(VALU_DEP_1)
	v_mov_b32_e32 v115, v71
.LBB4_413:                              ;   in Loop: Header=BB4_342 Depth=2
	s_or_b32 exec_lo, exec_lo, s14
	s_delay_alu instid0(VALU_DEP_1)
	v_mov_b32_e32 v16, v115
.LBB4_414:                              ;   in Loop: Header=BB4_342 Depth=2
	v_and_b32_e32 v12, 0x7fff, v17
	v_and_b32_e32 v71, 0x7fff, v13
	v_perm_b32 v114, v13, v17, 0x5040100
	s_mov_b32 s14, -1
	s_and_b32 vcc_lo, exec_lo, s29
	v_cmp_lt_u16_e64 s12, 0x7c00, v12
	v_cmp_gt_u16_e64 s13, 0x7c01, v71
                                        ; implicit-def: $vgpr12
	s_delay_alu instid0(VALU_DEP_1) | instskip(NEXT) | instid1(SALU_CYCLE_1)
	s_and_b32 vcc_hi, s12, s13
	s_xor_b32 vcc_hi, vcc_hi, -1
	s_cbranch_vccz .LBB4_420
; %bb.415:                              ;   in Loop: Header=BB4_342 Depth=2
	v_mov_b32_e32 v12, v13
	s_and_saveexec_b32 s30, vcc_hi
	s_cbranch_execz .LBB4_419
; %bb.416:                              ;   in Loop: Header=BB4_342 Depth=2
	v_mov_b32_e32 v12, v17
	s_or_b32 s14, s12, s13
	s_delay_alu instid0(SALU_CYCLE_1)
	s_and_saveexec_b32 s31, s14
; %bb.417:                              ;   in Loop: Header=BB4_342 Depth=2
	v_lshrrev_b32_e32 v12, 16, v114
	v_cmp_lt_u16_e32 vcc_lo, 0x7c00, v71
	s_delay_alu instid0(VALU_DEP_2) | instskip(NEXT) | instid1(VALU_DEP_1)
	v_cmp_gt_f16_e64 s14, v114, v12
	v_cndmask_b32_e64 v12, v12, v114, s14
	s_and_b32 s14, s12, vcc_lo
	s_delay_alu instid0(VALU_DEP_1) | instid1(SALU_CYCLE_1)
	v_cndmask_b32_e64 v12, v12, 0x7fff, s14
; %bb.418:                              ;   in Loop: Header=BB4_342 Depth=2
	s_or_b32 exec_lo, exec_lo, s31
.LBB4_419:                              ;   in Loop: Header=BB4_342 Depth=2
	s_delay_alu instid0(SALU_CYCLE_1)
	s_or_b32 exec_lo, exec_lo, s30
	s_mov_b32 s14, 0
.LBB4_420:                              ;   in Loop: Header=BB4_342 Depth=2
	s_delay_alu instid0(SALU_CYCLE_1)
	s_and_not1_b32 vcc_lo, exec_lo, s14
	s_cbranch_vccnz .LBB4_426
; %bb.421:                              ;   in Loop: Header=BB4_342 Depth=2
	v_mov_b32_e32 v12, v13
	s_and_saveexec_b32 s14, vcc_hi
	s_cbranch_execz .LBB4_425
; %bb.422:                              ;   in Loop: Header=BB4_342 Depth=2
	v_mov_b32_e32 v12, v17
	s_or_b32 s13, s12, s13
	s_delay_alu instid0(SALU_CYCLE_1)
	s_and_saveexec_b32 vcc_hi, s13
; %bb.423:                              ;   in Loop: Header=BB4_342 Depth=2
	v_lshrrev_b32_e32 v12, 16, v114
	v_cmp_lt_u16_e32 vcc_lo, 0x7c00, v71
	s_delay_alu instid0(VALU_DEP_2) | instskip(SKIP_1) | instid1(VALU_DEP_1)
	v_cmp_gt_f16_e64 s13, v114, v12
	s_and_b32 s12, s12, vcc_lo
	v_cndmask_b32_e64 v12, v114, v12, s13
	s_delay_alu instid0(VALU_DEP_1)
	v_cndmask_b32_e64 v12, v12, 0x7fff, s12
; %bb.424:                              ;   in Loop: Header=BB4_342 Depth=2
	s_or_b32 exec_lo, exec_lo, vcc_hi
.LBB4_425:                              ;   in Loop: Header=BB4_342 Depth=2
	s_delay_alu instid0(SALU_CYCLE_1)
	s_or_b32 exec_lo, exec_lo, s14
.LBB4_426:                              ;   in Loop: Header=BB4_342 Depth=2
	v_lshrrev_b32_e32 v71, 16, v17
	v_lshrrev_b32_e32 v115, 16, v13
	v_perm_b32 v13, v13, v17, 0x7060302
	s_mov_b32 s14, -1
	s_and_b32 vcc_lo, exec_lo, s29
	v_and_b32_e32 v116, 0x7fff, v71
	v_and_b32_e32 v114, 0x7fff, v115
                                        ; implicit-def: $vgpr17
	s_delay_alu instid0(VALU_DEP_2) | instskip(NEXT) | instid1(VALU_DEP_2)
	v_cmp_lt_u16_e64 s12, 0x7c00, v116
	v_cmp_gt_u16_e64 s13, 0x7c01, v114
	s_delay_alu instid0(VALU_DEP_1) | instskip(NEXT) | instid1(SALU_CYCLE_1)
	s_and_b32 vcc_hi, s12, s13
	s_xor_b32 vcc_hi, vcc_hi, -1
	s_cbranch_vccz .LBB4_432
; %bb.427:                              ;   in Loop: Header=BB4_342 Depth=2
	v_mov_b32_e32 v17, v115
	s_and_saveexec_b32 s30, vcc_hi
	s_cbranch_execz .LBB4_431
; %bb.428:                              ;   in Loop: Header=BB4_342 Depth=2
	v_mov_b32_e32 v17, v71
	s_or_b32 s14, s12, s13
	s_delay_alu instid0(SALU_CYCLE_1)
	s_and_saveexec_b32 s31, s14
; %bb.429:                              ;   in Loop: Header=BB4_342 Depth=2
	v_lshrrev_b32_e32 v17, 16, v13
	v_cmp_lt_u16_e32 vcc_lo, 0x7c00, v114
	s_delay_alu instid0(VALU_DEP_2) | instskip(NEXT) | instid1(VALU_DEP_1)
	v_cmp_gt_f16_e64 s14, v13, v17
	v_cndmask_b32_e64 v17, v17, v13, s14
	s_and_b32 s14, s12, vcc_lo
	s_delay_alu instid0(VALU_DEP_1) | instid1(SALU_CYCLE_1)
	v_cndmask_b32_e64 v17, v17, 0x7fff, s14
; %bb.430:                              ;   in Loop: Header=BB4_342 Depth=2
	s_or_b32 exec_lo, exec_lo, s31
.LBB4_431:                              ;   in Loop: Header=BB4_342 Depth=2
	s_delay_alu instid0(SALU_CYCLE_1)
	s_or_b32 exec_lo, exec_lo, s30
	s_mov_b32 s14, 0
.LBB4_432:                              ;   in Loop: Header=BB4_342 Depth=2
	s_delay_alu instid0(SALU_CYCLE_1)
	s_and_not1_b32 vcc_lo, exec_lo, s14
	s_cbranch_vccnz .LBB4_341
; %bb.433:                              ;   in Loop: Header=BB4_342 Depth=2
	s_and_saveexec_b32 s14, vcc_hi
	s_cbranch_execz .LBB4_340
; %bb.434:                              ;   in Loop: Header=BB4_342 Depth=2
	s_or_b32 s13, s12, s13
	s_delay_alu instid0(SALU_CYCLE_1)
	s_and_saveexec_b32 vcc_hi, s13
	s_cbranch_execz .LBB4_339
; %bb.435:                              ;   in Loop: Header=BB4_342 Depth=2
	v_lshrrev_b32_e32 v17, 16, v13
	v_cmp_lt_u16_e32 vcc_lo, 0x7c00, v114
	s_delay_alu instid0(VALU_DEP_2) | instskip(SKIP_1) | instid1(VALU_DEP_1)
	v_cmp_gt_f16_e64 s13, v13, v17
	s_and_b32 s12, s12, vcc_lo
	v_cndmask_b32_e64 v13, v13, v17, s13
	s_delay_alu instid0(VALU_DEP_1)
	v_cndmask_b32_e64 v71, v13, 0x7fff, s12
	s_branch .LBB4_339
.LBB4_436:                              ;   in Loop: Header=BB4_53 Depth=1
	s_or_b32 exec_lo, exec_lo, s28
.LBB4_437:                              ;   in Loop: Header=BB4_53 Depth=1
	s_delay_alu instid0(SALU_CYCLE_1) | instskip(SKIP_3) | instid1(VALU_DEP_1)
	s_or_b32 exec_lo, exec_lo, s27
	v_dual_mov_b32 v16, 0 :: v_dual_and_b32 v11, 14, v113
	s_mov_b32 s12, 0
	s_mov_b32 s13, exec_lo
                                        ; implicit-def: $vgpr17
                                        ; implicit-def: $vgpr10
	v_cndmask_b32_e64 v113, v67, v11, s11
	s_delay_alu instid0(VALU_DEP_1)
	v_cmpx_ne_u32_e32 0, v113
	s_cbranch_execz .LBB4_439
; %bb.438:                              ;   in Loop: Header=BB4_53 Depth=1
	v_cmp_lt_i32_e32 vcc_lo, 0, v68
	v_sub_nc_u32_e32 v11, v67, v11
	s_mov_b32 s12, exec_lo
	v_cndmask_b32_e32 v10, 0, v82, vcc_lo
	s_delay_alu instid0(VALU_DEP_2) | instskip(NEXT) | instid1(VALU_DEP_2)
	v_cndmask_b32_e64 v11, 0, v11, s11
	v_sub_nc_u32_e32 v10, v10, v68
	s_delay_alu instid0(VALU_DEP_2) | instskip(NEXT) | instid1(VALU_DEP_2)
	v_add3_u32 v16, v25, v24, v11
	v_lshl_add_u32 v17, v10, 5, v66
	s_delay_alu instid0(VALU_DEP_1) | instskip(NEXT) | instid1(VALU_DEP_1)
	v_ashrrev_i32_e32 v10, 31, v17
	v_lshrrev_b32_e32 v10, 27, v10
	s_delay_alu instid0(VALU_DEP_1) | instskip(NEXT) | instid1(VALU_DEP_1)
	v_add_nc_u32_e32 v10, v17, v10
	v_ashrrev_i32_e32 v10, 5, v10
.LBB4_439:                              ;   in Loop: Header=BB4_53 Depth=1
	s_or_b32 exec_lo, exec_lo, s13
	s_delay_alu instid0(SALU_CYCLE_1)
	s_and_b32 s11, s12, exec_lo
.LBB4_440:                              ;   in Loop: Header=BB4_53 Depth=1
	s_or_b32 exec_lo, exec_lo, s26
.LBB4_441:                              ;   in Loop: Header=BB4_53 Depth=1
	s_and_saveexec_b32 s14, s11
	s_cbranch_execz .LBB4_560
; %bb.442:                              ;   in Loop: Header=BB4_53 Depth=1
	v_ashrrev_i32_e32 v11, 31, v113
	s_mov_b32 s26, exec_lo
	s_delay_alu instid0(VALU_DEP_1) | instskip(NEXT) | instid1(VALU_DEP_1)
	v_lshrrev_b32_e32 v11, 23, v11
	v_add_nc_u32_e32 v11, v113, v11
	s_delay_alu instid0(VALU_DEP_1) | instskip(NEXT) | instid1(VALU_DEP_1)
	v_ashrrev_i32_e32 v19, 9, v11
	v_sub_nc_u32_e32 v18, v19, v10
	s_delay_alu instid0(VALU_DEP_1)
	v_cmpx_lt_i32_e32 0, v18
	s_cbranch_execz .LBB4_543
; %bb.443:                              ;   in Loop: Header=BB4_53 Depth=1
	s_cbranch_execnz .LBB4_1682
; %bb.444:                              ;   in Loop: Header=BB4_53 Depth=1
	v_ashrrev_i32_e32 v11, 31, v17
	ds_load_b64 v[20:21], v0
	v_lshlrev_b32_e32 v10, 9, v10
	s_bitcmp1_b32 s25, 0
	s_mov_b32 s28, 0
	v_lshrrev_b32_e32 v11, 27, v11
	s_cselect_b32 s27, -1, 0
	s_delay_alu instid0(VALU_DEP_1) | instskip(NEXT) | instid1(VALU_DEP_1)
	v_add_nc_u32_e32 v11, v17, v11
	v_and_b32_e32 v11, 0x7fffffe0, v11
	s_delay_alu instid0(VALU_DEP_1)
	v_sub_nc_u32_e32 v15, v17, v11
	ds_load_b128 v[11:14], v0
	s_waitcnt lgkmcnt(1)
	v_add_co_u32 v20, vcc_lo, 0x1c0, v20
	v_add_co_ci_u32_e32 v21, vcc_lo, 0, v21, vcc_lo
	v_lshlrev_b32_e32 v15, 1, v15
	s_delay_alu instid0(VALU_DEP_1) | instskip(NEXT) | instid1(VALU_DEP_1)
	v_add3_u32 v15, v15, v16, v10
	v_ashrrev_i32_e32 v22, 31, v15
	s_waitcnt lgkmcnt(0)
	v_add_co_u32 v10, vcc_lo, v11, v15
	s_delay_alu instid0(VALU_DEP_2)
	v_add_co_ci_u32_e32 v11, vcc_lo, v12, v22, vcc_lo
	v_add_co_u32 v12, vcc_lo, v13, v15
	v_add_co_ci_u32_e32 v13, vcc_lo, v14, v22, vcc_lo
	v_add_co_u32 v14, vcc_lo, v20, v15
	v_add_co_ci_u32_e32 v15, vcc_lo, v21, v22, vcc_lo
	s_branch .LBB4_448
.LBB4_445:                              ;   in Loop: Header=BB4_448 Depth=2
	s_or_b32 exec_lo, exec_lo, s29
	s_delay_alu instid0(VALU_DEP_1)
	v_mov_b32_e32 v21, v20
.LBB4_446:                              ;   in Loop: Header=BB4_448 Depth=2
	s_or_b32 exec_lo, exec_lo, s13
	s_delay_alu instid0(VALU_DEP_1)
	v_mov_b32_e32 v23, v21
.LBB4_447:                              ;   in Loop: Header=BB4_448 Depth=2
	v_add_co_u32 v20, vcc_lo, 0xfffffe40, v14
	v_add_co_ci_u32_e32 v21, vcc_lo, -1, v15, vcc_lo
	v_add_co_u32 v115, vcc_lo, 0xfffffe80, v14
	v_add_co_ci_u32_e32 v116, vcc_lo, -1, v15, vcc_lo
	v_sub_nc_u32_e32 v18, v18, v82
	flat_store_b16 v[20:21], v22 glc slc dlc
	flat_store_b16 v[115:116], v25 glc slc dlc
	v_add_co_u32 v20, vcc_lo, 0xfffffec0, v14
	v_add_co_ci_u32_e32 v21, vcc_lo, -1, v15, vcc_lo
	v_add_co_u32 v24, vcc_lo, 0xffffff00, v14
	v_add_co_ci_u32_e32 v25, vcc_lo, -1, v15, vcc_lo
	;; [unrolled: 2-line block ×5, first 2 shown]
	v_add_co_u32 v10, vcc_lo, v10, v99
	v_add_co_ci_u32_e32 v11, vcc_lo, v11, v100, vcc_lo
	v_add_co_u32 v12, vcc_lo, v12, v99
	v_add_co_ci_u32_e32 v13, vcc_lo, v13, v100, vcc_lo
	flat_store_b16 v[20:21], v68 glc slc dlc
	flat_store_b16 v[24:25], v71 glc slc dlc
	;; [unrolled: 1-line block ×6, first 2 shown]
	v_cmp_gt_i32_e32 vcc_lo, 1, v18
	v_add_co_u32 v14, s11, v14, v99
	s_delay_alu instid0(VALU_DEP_1) | instskip(SKIP_1) | instid1(SALU_CYCLE_1)
	v_add_co_ci_u32_e64 v15, s11, v15, v100, s11
	s_or_b32 s28, vcc_lo, s28
	s_and_not1_b32 exec_lo, exec_lo, s28
	s_cbranch_execz .LBB4_542
.LBB4_448:                              ;   Parent Loop BB4_53 Depth=1
                                        ; =>  This Inner Loop Header: Depth=2
	flat_load_u16 v25, v[10:11] slc dlc
	flat_load_u16 v118, v[12:13] slc dlc
	s_clause 0x6
	flat_load_u16 v68, v[10:11] offset:64 slc dlc
	flat_load_u16 v71, v[10:11] offset:128 slc dlc
	;; [unrolled: 1-line block ×7, first 2 shown]
	s_clause 0x6
	flat_load_u16 v117, v[12:13] offset:64 slc dlc
	flat_load_u16 v116, v[12:13] offset:128 slc dlc
	;; [unrolled: 1-line block ×7, first 2 shown]
	s_mov_b32 s13, -1
	s_and_b32 vcc_lo, exec_lo, s27
	s_waitcnt vmcnt(15) lgkmcnt(15)
	v_and_b32_e32 v22, 0x7fff, v25
	s_waitcnt vmcnt(14) lgkmcnt(14)
	v_and_b32_e32 v119, 0x7fff, v118
	s_delay_alu instid0(VALU_DEP_2) | instskip(NEXT) | instid1(VALU_DEP_2)
	v_cmp_lt_u16_e64 s11, 0x7c00, v22
	v_cmp_gt_u16_e64 s12, 0x7c01, v119
                                        ; implicit-def: $vgpr22
	s_delay_alu instid0(VALU_DEP_1) | instskip(NEXT) | instid1(SALU_CYCLE_1)
	s_and_b32 s29, s11, s12
	s_xor_b32 s29, s29, -1
	s_cbranch_vccz .LBB4_454
; %bb.449:                              ;   in Loop: Header=BB4_448 Depth=2
	v_mov_b32_e32 v22, v118
	s_and_saveexec_b32 vcc_hi, s29
	s_cbranch_execz .LBB4_453
; %bb.450:                              ;   in Loop: Header=BB4_448 Depth=2
	v_mov_b32_e32 v22, v25
	s_or_b32 s13, s11, s12
	s_delay_alu instid0(SALU_CYCLE_1)
	s_and_saveexec_b32 s30, s13
; %bb.451:                              ;   in Loop: Header=BB4_448 Depth=2
	v_cmp_gt_f16_e64 s13, v25, v118
	v_cmp_lt_u16_e32 vcc_lo, 0x7c00, v119
	s_delay_alu instid0(VALU_DEP_2)
	v_cndmask_b32_e64 v22, v118, v25, s13
	s_and_b32 s13, s11, vcc_lo
	s_delay_alu instid0(VALU_DEP_1) | instid1(SALU_CYCLE_1)
	v_cndmask_b32_e64 v22, v22, 0x7fff, s13
; %bb.452:                              ;   in Loop: Header=BB4_448 Depth=2
	s_or_b32 exec_lo, exec_lo, s30
.LBB4_453:                              ;   in Loop: Header=BB4_448 Depth=2
	s_delay_alu instid0(SALU_CYCLE_1)
	s_or_b32 exec_lo, exec_lo, vcc_hi
	s_mov_b32 s13, 0
.LBB4_454:                              ;   in Loop: Header=BB4_448 Depth=2
	s_delay_alu instid0(SALU_CYCLE_1)
	s_and_not1_b32 vcc_lo, exec_lo, s13
	s_cbranch_vccnz .LBB4_460
; %bb.455:                              ;   in Loop: Header=BB4_448 Depth=2
	s_and_saveexec_b32 s13, s29
	s_cbranch_execz .LBB4_459
; %bb.456:                              ;   in Loop: Header=BB4_448 Depth=2
	s_or_b32 s12, s11, s12
	s_delay_alu instid0(SALU_CYCLE_1)
	s_and_saveexec_b32 s29, s12
; %bb.457:                              ;   in Loop: Header=BB4_448 Depth=2
	v_cmp_gt_f16_e64 s12, v25, v118
	v_cmp_lt_u16_e32 vcc_lo, 0x7c00, v119
	s_delay_alu instid0(VALU_DEP_2)
	v_cndmask_b32_e64 v22, v25, v118, s12
	s_and_b32 s11, s11, vcc_lo
	s_delay_alu instid0(VALU_DEP_1) | instid1(SALU_CYCLE_1)
	v_cndmask_b32_e64 v25, v22, 0x7fff, s11
; %bb.458:                              ;   in Loop: Header=BB4_448 Depth=2
	s_or_b32 exec_lo, exec_lo, s29
	s_delay_alu instid0(VALU_DEP_1)
	v_mov_b32_e32 v118, v25
.LBB4_459:                              ;   in Loop: Header=BB4_448 Depth=2
	s_or_b32 exec_lo, exec_lo, s13
	s_delay_alu instid0(VALU_DEP_1)
	v_mov_b32_e32 v22, v118
.LBB4_460:                              ;   in Loop: Header=BB4_448 Depth=2
	s_waitcnt vmcnt(13) lgkmcnt(13)
	v_and_b32_e32 v25, 0x7fff, v68
	s_waitcnt vmcnt(6) lgkmcnt(6)
	v_and_b32_e32 v118, 0x7fff, v117
	s_mov_b32 s13, -1
	s_and_not1_b32 vcc_lo, exec_lo, s27
	v_cmp_lt_u16_e64 s11, 0x7c00, v25
	s_delay_alu instid0(VALU_DEP_2) | instskip(NEXT) | instid1(VALU_DEP_1)
	v_cmp_gt_u16_e64 s12, 0x7c01, v118
                                        ; implicit-def: $vgpr25
	s_and_b32 s29, s11, s12
	s_delay_alu instid0(SALU_CYCLE_1)
	s_xor_b32 s29, s29, -1
	s_cbranch_vccnz .LBB4_466
; %bb.461:                              ;   in Loop: Header=BB4_448 Depth=2
	v_mov_b32_e32 v25, v117
	s_and_saveexec_b32 vcc_hi, s29
	s_cbranch_execz .LBB4_465
; %bb.462:                              ;   in Loop: Header=BB4_448 Depth=2
	v_mov_b32_e32 v25, v68
	s_or_b32 s13, s11, s12
	s_delay_alu instid0(SALU_CYCLE_1)
	s_and_saveexec_b32 s30, s13
; %bb.463:                              ;   in Loop: Header=BB4_448 Depth=2
	v_cmp_gt_f16_e64 s13, v68, v117
	v_cmp_lt_u16_e32 vcc_lo, 0x7c00, v118
	s_delay_alu instid0(VALU_DEP_2)
	v_cndmask_b32_e64 v25, v117, v68, s13
	s_and_b32 s13, s11, vcc_lo
	s_delay_alu instid0(VALU_DEP_1) | instid1(SALU_CYCLE_1)
	v_cndmask_b32_e64 v25, v25, 0x7fff, s13
; %bb.464:                              ;   in Loop: Header=BB4_448 Depth=2
	s_or_b32 exec_lo, exec_lo, s30
.LBB4_465:                              ;   in Loop: Header=BB4_448 Depth=2
	s_delay_alu instid0(SALU_CYCLE_1)
	s_or_b32 exec_lo, exec_lo, vcc_hi
	s_mov_b32 s13, 0
.LBB4_466:                              ;   in Loop: Header=BB4_448 Depth=2
	s_delay_alu instid0(SALU_CYCLE_1)
	s_and_not1_b32 vcc_lo, exec_lo, s13
	s_cbranch_vccnz .LBB4_472
; %bb.467:                              ;   in Loop: Header=BB4_448 Depth=2
	s_and_saveexec_b32 s13, s29
	s_cbranch_execz .LBB4_471
; %bb.468:                              ;   in Loop: Header=BB4_448 Depth=2
	s_or_b32 s12, s11, s12
	s_delay_alu instid0(SALU_CYCLE_1)
	s_and_saveexec_b32 s29, s12
; %bb.469:                              ;   in Loop: Header=BB4_448 Depth=2
	v_cmp_gt_f16_e64 s12, v68, v117
	v_cmp_lt_u16_e32 vcc_lo, 0x7c00, v118
	s_delay_alu instid0(VALU_DEP_2)
	v_cndmask_b32_e64 v25, v68, v117, s12
	s_and_b32 s11, s11, vcc_lo
	s_delay_alu instid0(VALU_DEP_1) | instid1(SALU_CYCLE_1)
	v_cndmask_b32_e64 v68, v25, 0x7fff, s11
; %bb.470:                              ;   in Loop: Header=BB4_448 Depth=2
	s_or_b32 exec_lo, exec_lo, s29
	s_delay_alu instid0(VALU_DEP_1)
	v_mov_b32_e32 v117, v68
.LBB4_471:                              ;   in Loop: Header=BB4_448 Depth=2
	s_or_b32 exec_lo, exec_lo, s13
	s_delay_alu instid0(VALU_DEP_1)
	v_mov_b32_e32 v25, v117
.LBB4_472:                              ;   in Loop: Header=BB4_448 Depth=2
	v_and_b32_e32 v68, 0x7fff, v71
	s_waitcnt vmcnt(5) lgkmcnt(5)
	v_and_b32_e32 v117, 0x7fff, v116
	s_mov_b32 s13, -1
	s_and_not1_b32 vcc_lo, exec_lo, s27
	v_cmp_lt_u16_e64 s11, 0x7c00, v68
	s_delay_alu instid0(VALU_DEP_2) | instskip(NEXT) | instid1(VALU_DEP_1)
	v_cmp_gt_u16_e64 s12, 0x7c01, v117
                                        ; implicit-def: $vgpr68
	s_and_b32 s29, s11, s12
	s_delay_alu instid0(SALU_CYCLE_1)
	s_xor_b32 s29, s29, -1
	s_cbranch_vccnz .LBB4_478
; %bb.473:                              ;   in Loop: Header=BB4_448 Depth=2
	v_mov_b32_e32 v68, v116
	s_and_saveexec_b32 vcc_hi, s29
	s_cbranch_execz .LBB4_477
; %bb.474:                              ;   in Loop: Header=BB4_448 Depth=2
	v_mov_b32_e32 v68, v71
	s_or_b32 s13, s11, s12
	s_delay_alu instid0(SALU_CYCLE_1)
	s_and_saveexec_b32 s30, s13
; %bb.475:                              ;   in Loop: Header=BB4_448 Depth=2
	v_cmp_gt_f16_e64 s13, v71, v116
	v_cmp_lt_u16_e32 vcc_lo, 0x7c00, v117
	s_delay_alu instid0(VALU_DEP_2)
	v_cndmask_b32_e64 v68, v116, v71, s13
	s_and_b32 s13, s11, vcc_lo
	s_delay_alu instid0(VALU_DEP_1) | instid1(SALU_CYCLE_1)
	v_cndmask_b32_e64 v68, v68, 0x7fff, s13
; %bb.476:                              ;   in Loop: Header=BB4_448 Depth=2
	s_or_b32 exec_lo, exec_lo, s30
.LBB4_477:                              ;   in Loop: Header=BB4_448 Depth=2
	s_delay_alu instid0(SALU_CYCLE_1)
	s_or_b32 exec_lo, exec_lo, vcc_hi
	s_mov_b32 s13, 0
.LBB4_478:                              ;   in Loop: Header=BB4_448 Depth=2
	s_delay_alu instid0(SALU_CYCLE_1)
	s_and_not1_b32 vcc_lo, exec_lo, s13
	s_cbranch_vccnz .LBB4_484
; %bb.479:                              ;   in Loop: Header=BB4_448 Depth=2
	s_and_saveexec_b32 s13, s29
	s_cbranch_execz .LBB4_483
; %bb.480:                              ;   in Loop: Header=BB4_448 Depth=2
	s_or_b32 s12, s11, s12
	s_delay_alu instid0(SALU_CYCLE_1)
	s_and_saveexec_b32 s29, s12
; %bb.481:                              ;   in Loop: Header=BB4_448 Depth=2
	v_cmp_gt_f16_e64 s12, v71, v116
	v_cmp_lt_u16_e32 vcc_lo, 0x7c00, v117
	s_delay_alu instid0(VALU_DEP_2)
	v_cndmask_b32_e64 v68, v71, v116, s12
	s_and_b32 s11, s11, vcc_lo
	s_delay_alu instid0(VALU_DEP_1) | instid1(SALU_CYCLE_1)
	v_cndmask_b32_e64 v71, v68, 0x7fff, s11
; %bb.482:                              ;   in Loop: Header=BB4_448 Depth=2
	s_or_b32 exec_lo, exec_lo, s29
	s_delay_alu instid0(VALU_DEP_1)
	v_mov_b32_e32 v116, v71
.LBB4_483:                              ;   in Loop: Header=BB4_448 Depth=2
	s_or_b32 exec_lo, exec_lo, s13
	s_delay_alu instid0(VALU_DEP_1)
	v_mov_b32_e32 v68, v116
.LBB4_484:                              ;   in Loop: Header=BB4_448 Depth=2
	v_and_b32_e32 v71, 0x7fff, v114
	s_waitcnt vmcnt(4) lgkmcnt(4)
	v_and_b32_e32 v116, 0x7fff, v115
	s_mov_b32 s13, -1
	s_and_not1_b32 vcc_lo, exec_lo, s27
	v_cmp_lt_u16_e64 s11, 0x7c00, v71
	s_delay_alu instid0(VALU_DEP_2) | instskip(NEXT) | instid1(VALU_DEP_1)
	v_cmp_gt_u16_e64 s12, 0x7c01, v116
                                        ; implicit-def: $vgpr71
	s_and_b32 s29, s11, s12
	s_delay_alu instid0(SALU_CYCLE_1)
	s_xor_b32 s29, s29, -1
	s_cbranch_vccnz .LBB4_490
; %bb.485:                              ;   in Loop: Header=BB4_448 Depth=2
	v_mov_b32_e32 v71, v115
	s_and_saveexec_b32 vcc_hi, s29
	s_cbranch_execz .LBB4_489
; %bb.486:                              ;   in Loop: Header=BB4_448 Depth=2
	v_mov_b32_e32 v71, v114
	s_or_b32 s13, s11, s12
	s_delay_alu instid0(SALU_CYCLE_1)
	s_and_saveexec_b32 s30, s13
; %bb.487:                              ;   in Loop: Header=BB4_448 Depth=2
	v_cmp_gt_f16_e64 s13, v114, v115
	v_cmp_lt_u16_e32 vcc_lo, 0x7c00, v116
	s_delay_alu instid0(VALU_DEP_2)
	v_cndmask_b32_e64 v71, v115, v114, s13
	s_and_b32 s13, s11, vcc_lo
	s_delay_alu instid0(VALU_DEP_1) | instid1(SALU_CYCLE_1)
	v_cndmask_b32_e64 v71, v71, 0x7fff, s13
; %bb.488:                              ;   in Loop: Header=BB4_448 Depth=2
	s_or_b32 exec_lo, exec_lo, s30
.LBB4_489:                              ;   in Loop: Header=BB4_448 Depth=2
	s_delay_alu instid0(SALU_CYCLE_1)
	s_or_b32 exec_lo, exec_lo, vcc_hi
	s_mov_b32 s13, 0
.LBB4_490:                              ;   in Loop: Header=BB4_448 Depth=2
	s_delay_alu instid0(SALU_CYCLE_1)
	s_and_not1_b32 vcc_lo, exec_lo, s13
	s_cbranch_vccnz .LBB4_496
; %bb.491:                              ;   in Loop: Header=BB4_448 Depth=2
	s_and_saveexec_b32 s13, s29
	s_cbranch_execz .LBB4_495
; %bb.492:                              ;   in Loop: Header=BB4_448 Depth=2
	s_or_b32 s12, s11, s12
	s_delay_alu instid0(SALU_CYCLE_1)
	s_and_saveexec_b32 s29, s12
; %bb.493:                              ;   in Loop: Header=BB4_448 Depth=2
	v_cmp_gt_f16_e64 s12, v114, v115
	v_cmp_lt_u16_e32 vcc_lo, 0x7c00, v116
	s_delay_alu instid0(VALU_DEP_2)
	v_cndmask_b32_e64 v71, v114, v115, s12
	s_and_b32 s11, s11, vcc_lo
	s_delay_alu instid0(VALU_DEP_1) | instid1(SALU_CYCLE_1)
	v_cndmask_b32_e64 v114, v71, 0x7fff, s11
; %bb.494:                              ;   in Loop: Header=BB4_448 Depth=2
	s_or_b32 exec_lo, exec_lo, s29
	s_delay_alu instid0(VALU_DEP_1)
	v_mov_b32_e32 v115, v114
.LBB4_495:                              ;   in Loop: Header=BB4_448 Depth=2
	s_or_b32 exec_lo, exec_lo, s13
	s_delay_alu instid0(VALU_DEP_1)
	v_mov_b32_e32 v71, v115
.LBB4_496:                              ;   in Loop: Header=BB4_448 Depth=2
	v_and_b32_e32 v114, 0x7fff, v69
	s_waitcnt vmcnt(3) lgkmcnt(3)
	v_and_b32_e32 v115, 0x7fff, v70
	s_mov_b32 s13, -1
	s_and_not1_b32 vcc_lo, exec_lo, s27
	v_cmp_lt_u16_e64 s11, 0x7c00, v114
	s_delay_alu instid0(VALU_DEP_2) | instskip(NEXT) | instid1(VALU_DEP_1)
	v_cmp_gt_u16_e64 s12, 0x7c01, v115
                                        ; implicit-def: $vgpr114
	s_and_b32 s29, s11, s12
	s_delay_alu instid0(SALU_CYCLE_1)
	s_xor_b32 s29, s29, -1
	s_cbranch_vccnz .LBB4_502
; %bb.497:                              ;   in Loop: Header=BB4_448 Depth=2
	v_mov_b32_e32 v114, v70
	s_and_saveexec_b32 vcc_hi, s29
	s_cbranch_execz .LBB4_501
; %bb.498:                              ;   in Loop: Header=BB4_448 Depth=2
	v_mov_b32_e32 v114, v69
	s_or_b32 s13, s11, s12
	s_delay_alu instid0(SALU_CYCLE_1)
	s_and_saveexec_b32 s30, s13
; %bb.499:                              ;   in Loop: Header=BB4_448 Depth=2
	v_cmp_gt_f16_e64 s13, v69, v70
	v_cmp_lt_u16_e32 vcc_lo, 0x7c00, v115
	s_delay_alu instid0(VALU_DEP_2)
	v_cndmask_b32_e64 v114, v70, v69, s13
	s_and_b32 s13, s11, vcc_lo
	s_delay_alu instid0(VALU_DEP_1) | instid1(SALU_CYCLE_1)
	v_cndmask_b32_e64 v114, v114, 0x7fff, s13
; %bb.500:                              ;   in Loop: Header=BB4_448 Depth=2
	s_or_b32 exec_lo, exec_lo, s30
.LBB4_501:                              ;   in Loop: Header=BB4_448 Depth=2
	s_delay_alu instid0(SALU_CYCLE_1)
	s_or_b32 exec_lo, exec_lo, vcc_hi
	s_mov_b32 s13, 0
.LBB4_502:                              ;   in Loop: Header=BB4_448 Depth=2
	s_delay_alu instid0(SALU_CYCLE_1)
	s_and_not1_b32 vcc_lo, exec_lo, s13
	s_cbranch_vccnz .LBB4_508
; %bb.503:                              ;   in Loop: Header=BB4_448 Depth=2
	s_and_saveexec_b32 s13, s29
	s_cbranch_execz .LBB4_507
; %bb.504:                              ;   in Loop: Header=BB4_448 Depth=2
	s_or_b32 s12, s11, s12
	s_delay_alu instid0(SALU_CYCLE_1)
	s_and_saveexec_b32 s29, s12
; %bb.505:                              ;   in Loop: Header=BB4_448 Depth=2
	v_cmp_gt_f16_e64 s12, v69, v70
	v_cmp_lt_u16_e32 vcc_lo, 0x7c00, v115
	s_delay_alu instid0(VALU_DEP_2)
	v_cndmask_b32_e64 v69, v69, v70, s12
	s_and_b32 s11, s11, vcc_lo
	s_delay_alu instid0(VALU_DEP_1) | instid1(SALU_CYCLE_1)
	v_cndmask_b32_e64 v69, v69, 0x7fff, s11
; %bb.506:                              ;   in Loop: Header=BB4_448 Depth=2
	s_or_b32 exec_lo, exec_lo, s29
	s_delay_alu instid0(VALU_DEP_1)
	v_mov_b32_e32 v70, v69
.LBB4_507:                              ;   in Loop: Header=BB4_448 Depth=2
	s_or_b32 exec_lo, exec_lo, s13
	s_delay_alu instid0(VALU_DEP_1)
	v_mov_b32_e32 v114, v70
.LBB4_508:                              ;   in Loop: Header=BB4_448 Depth=2
	v_and_b32_e32 v69, 0x7fff, v66
	s_waitcnt vmcnt(2) lgkmcnt(2)
	v_and_b32_e32 v70, 0x7fff, v67
	s_mov_b32 s13, -1
	s_and_not1_b32 vcc_lo, exec_lo, s27
	v_cmp_lt_u16_e64 s11, 0x7c00, v69
	s_delay_alu instid0(VALU_DEP_2) | instskip(NEXT) | instid1(VALU_DEP_1)
	v_cmp_gt_u16_e64 s12, 0x7c01, v70
                                        ; implicit-def: $vgpr69
	s_and_b32 s29, s11, s12
	s_delay_alu instid0(SALU_CYCLE_1)
	s_xor_b32 s29, s29, -1
	s_cbranch_vccnz .LBB4_514
; %bb.509:                              ;   in Loop: Header=BB4_448 Depth=2
	v_mov_b32_e32 v69, v67
	s_and_saveexec_b32 vcc_hi, s29
	s_cbranch_execz .LBB4_513
; %bb.510:                              ;   in Loop: Header=BB4_448 Depth=2
	v_mov_b32_e32 v69, v66
	s_or_b32 s13, s11, s12
	s_delay_alu instid0(SALU_CYCLE_1)
	s_and_saveexec_b32 s30, s13
; %bb.511:                              ;   in Loop: Header=BB4_448 Depth=2
	v_cmp_gt_f16_e64 s13, v66, v67
	v_cmp_lt_u16_e32 vcc_lo, 0x7c00, v70
	s_delay_alu instid0(VALU_DEP_2)
	v_cndmask_b32_e64 v69, v67, v66, s13
	s_and_b32 s13, s11, vcc_lo
	s_delay_alu instid0(VALU_DEP_1) | instid1(SALU_CYCLE_1)
	v_cndmask_b32_e64 v69, v69, 0x7fff, s13
; %bb.512:                              ;   in Loop: Header=BB4_448 Depth=2
	s_or_b32 exec_lo, exec_lo, s30
.LBB4_513:                              ;   in Loop: Header=BB4_448 Depth=2
	s_delay_alu instid0(SALU_CYCLE_1)
	s_or_b32 exec_lo, exec_lo, vcc_hi
	s_mov_b32 s13, 0
.LBB4_514:                              ;   in Loop: Header=BB4_448 Depth=2
	s_delay_alu instid0(SALU_CYCLE_1)
	s_and_not1_b32 vcc_lo, exec_lo, s13
	s_cbranch_vccnz .LBB4_520
; %bb.515:                              ;   in Loop: Header=BB4_448 Depth=2
	s_and_saveexec_b32 s13, s29
	s_cbranch_execz .LBB4_519
; %bb.516:                              ;   in Loop: Header=BB4_448 Depth=2
	s_or_b32 s12, s11, s12
	s_delay_alu instid0(SALU_CYCLE_1)
	s_and_saveexec_b32 s29, s12
; %bb.517:                              ;   in Loop: Header=BB4_448 Depth=2
	v_cmp_gt_f16_e64 s12, v66, v67
	v_cmp_lt_u16_e32 vcc_lo, 0x7c00, v70
	s_delay_alu instid0(VALU_DEP_2)
	v_cndmask_b32_e64 v66, v66, v67, s12
	s_and_b32 s11, s11, vcc_lo
	s_delay_alu instid0(VALU_DEP_1) | instid1(SALU_CYCLE_1)
	v_cndmask_b32_e64 v66, v66, 0x7fff, s11
; %bb.518:                              ;   in Loop: Header=BB4_448 Depth=2
	s_or_b32 exec_lo, exec_lo, s29
	s_delay_alu instid0(VALU_DEP_1)
	v_mov_b32_e32 v67, v66
.LBB4_519:                              ;   in Loop: Header=BB4_448 Depth=2
	s_or_b32 exec_lo, exec_lo, s13
	s_delay_alu instid0(VALU_DEP_1)
	v_mov_b32_e32 v69, v67
.LBB4_520:                              ;   in Loop: Header=BB4_448 Depth=2
	v_and_b32_e32 v66, 0x7fff, v23
	s_waitcnt vmcnt(1) lgkmcnt(1)
	v_and_b32_e32 v67, 0x7fff, v24
	s_mov_b32 s13, -1
	s_and_not1_b32 vcc_lo, exec_lo, s27
	v_cmp_lt_u16_e64 s11, 0x7c00, v66
	s_delay_alu instid0(VALU_DEP_2) | instskip(NEXT) | instid1(VALU_DEP_1)
	v_cmp_gt_u16_e64 s12, 0x7c01, v67
                                        ; implicit-def: $vgpr66
	s_and_b32 s29, s11, s12
	s_delay_alu instid0(SALU_CYCLE_1)
	s_xor_b32 s29, s29, -1
	s_cbranch_vccnz .LBB4_526
; %bb.521:                              ;   in Loop: Header=BB4_448 Depth=2
	v_mov_b32_e32 v66, v24
	s_and_saveexec_b32 vcc_hi, s29
	s_cbranch_execz .LBB4_525
; %bb.522:                              ;   in Loop: Header=BB4_448 Depth=2
	v_mov_b32_e32 v66, v23
	s_or_b32 s13, s11, s12
	s_delay_alu instid0(SALU_CYCLE_1)
	s_and_saveexec_b32 s30, s13
; %bb.523:                              ;   in Loop: Header=BB4_448 Depth=2
	v_cmp_gt_f16_e64 s13, v23, v24
	v_cmp_lt_u16_e32 vcc_lo, 0x7c00, v67
	s_delay_alu instid0(VALU_DEP_2)
	v_cndmask_b32_e64 v66, v24, v23, s13
	s_and_b32 s13, s11, vcc_lo
	s_delay_alu instid0(VALU_DEP_1) | instid1(SALU_CYCLE_1)
	v_cndmask_b32_e64 v66, v66, 0x7fff, s13
; %bb.524:                              ;   in Loop: Header=BB4_448 Depth=2
	s_or_b32 exec_lo, exec_lo, s30
.LBB4_525:                              ;   in Loop: Header=BB4_448 Depth=2
	s_delay_alu instid0(SALU_CYCLE_1)
	s_or_b32 exec_lo, exec_lo, vcc_hi
	s_mov_b32 s13, 0
.LBB4_526:                              ;   in Loop: Header=BB4_448 Depth=2
	s_delay_alu instid0(SALU_CYCLE_1)
	s_and_not1_b32 vcc_lo, exec_lo, s13
	s_cbranch_vccnz .LBB4_532
; %bb.527:                              ;   in Loop: Header=BB4_448 Depth=2
	s_and_saveexec_b32 s13, s29
	s_cbranch_execz .LBB4_531
; %bb.528:                              ;   in Loop: Header=BB4_448 Depth=2
	s_or_b32 s12, s11, s12
	s_delay_alu instid0(SALU_CYCLE_1)
	s_and_saveexec_b32 s29, s12
; %bb.529:                              ;   in Loop: Header=BB4_448 Depth=2
	v_cmp_gt_f16_e64 s12, v23, v24
	v_cmp_lt_u16_e32 vcc_lo, 0x7c00, v67
	s_delay_alu instid0(VALU_DEP_2)
	v_cndmask_b32_e64 v23, v23, v24, s12
	s_and_b32 s11, s11, vcc_lo
	s_delay_alu instid0(VALU_DEP_1) | instid1(SALU_CYCLE_1)
	v_cndmask_b32_e64 v23, v23, 0x7fff, s11
; %bb.530:                              ;   in Loop: Header=BB4_448 Depth=2
	s_or_b32 exec_lo, exec_lo, s29
	s_delay_alu instid0(VALU_DEP_1)
	v_mov_b32_e32 v24, v23
.LBB4_531:                              ;   in Loop: Header=BB4_448 Depth=2
	s_or_b32 exec_lo, exec_lo, s13
	s_delay_alu instid0(VALU_DEP_1)
	v_mov_b32_e32 v66, v24
.LBB4_532:                              ;   in Loop: Header=BB4_448 Depth=2
	v_and_b32_e32 v23, 0x7fff, v20
	s_waitcnt vmcnt(0) lgkmcnt(0)
	v_and_b32_e32 v24, 0x7fff, v21
	s_mov_b32 s13, -1
	s_and_not1_b32 vcc_lo, exec_lo, s27
	v_cmp_lt_u16_e64 s11, 0x7c00, v23
	s_delay_alu instid0(VALU_DEP_2) | instskip(NEXT) | instid1(VALU_DEP_1)
	v_cmp_gt_u16_e64 s12, 0x7c01, v24
                                        ; implicit-def: $vgpr23
	s_and_b32 s29, s11, s12
	s_delay_alu instid0(SALU_CYCLE_1)
	s_xor_b32 s29, s29, -1
	s_cbranch_vccnz .LBB4_538
; %bb.533:                              ;   in Loop: Header=BB4_448 Depth=2
	v_mov_b32_e32 v23, v21
	s_and_saveexec_b32 vcc_hi, s29
	s_cbranch_execz .LBB4_537
; %bb.534:                              ;   in Loop: Header=BB4_448 Depth=2
	v_mov_b32_e32 v23, v20
	s_or_b32 s13, s11, s12
	s_delay_alu instid0(SALU_CYCLE_1)
	s_and_saveexec_b32 s30, s13
; %bb.535:                              ;   in Loop: Header=BB4_448 Depth=2
	v_cmp_gt_f16_e64 s13, v20, v21
	v_cmp_lt_u16_e32 vcc_lo, 0x7c00, v24
	s_delay_alu instid0(VALU_DEP_2)
	v_cndmask_b32_e64 v23, v21, v20, s13
	s_and_b32 s13, s11, vcc_lo
	s_delay_alu instid0(VALU_DEP_1) | instid1(SALU_CYCLE_1)
	v_cndmask_b32_e64 v23, v23, 0x7fff, s13
; %bb.536:                              ;   in Loop: Header=BB4_448 Depth=2
	s_or_b32 exec_lo, exec_lo, s30
.LBB4_537:                              ;   in Loop: Header=BB4_448 Depth=2
	s_delay_alu instid0(SALU_CYCLE_1)
	s_or_b32 exec_lo, exec_lo, vcc_hi
	s_mov_b32 s13, 0
.LBB4_538:                              ;   in Loop: Header=BB4_448 Depth=2
	s_delay_alu instid0(SALU_CYCLE_1)
	s_and_not1_b32 vcc_lo, exec_lo, s13
	s_cbranch_vccnz .LBB4_447
; %bb.539:                              ;   in Loop: Header=BB4_448 Depth=2
	s_and_saveexec_b32 s13, s29
	s_cbranch_execz .LBB4_446
; %bb.540:                              ;   in Loop: Header=BB4_448 Depth=2
	s_or_b32 s12, s11, s12
	s_delay_alu instid0(SALU_CYCLE_1)
	s_and_saveexec_b32 s29, s12
	s_cbranch_execz .LBB4_445
; %bb.541:                              ;   in Loop: Header=BB4_448 Depth=2
	v_cmp_gt_f16_e64 s12, v20, v21
	v_cmp_lt_u16_e32 vcc_lo, 0x7c00, v24
	s_delay_alu instid0(VALU_DEP_2)
	v_cndmask_b32_e64 v20, v20, v21, s12
	s_and_b32 s11, s11, vcc_lo
	s_delay_alu instid0(VALU_DEP_1) | instid1(SALU_CYCLE_1)
	v_cndmask_b32_e64 v20, v20, 0x7fff, s11
	s_branch .LBB4_445
.LBB4_542:                              ;   in Loop: Header=BB4_53 Depth=1
	s_or_b32 exec_lo, exec_lo, s28
.LBB4_543:                              ;   in Loop: Header=BB4_53 Depth=1
	s_delay_alu instid0(SALU_CYCLE_1) | instskip(SKIP_1) | instid1(VALU_DEP_1)
	s_or_b32 exec_lo, exec_lo, s26
	v_lshlrev_b32_e32 v10, 9, v19
	v_cmp_ne_u32_e32 vcc_lo, v113, v10
	s_and_b32 exec_lo, exec_lo, vcc_lo
	s_cbranch_execz .LBB4_560
; %bb.544:                              ;   in Loop: Header=BB4_53 Depth=1
	v_ashrrev_i32_e32 v11, 31, v17
	v_lshlrev_b32_e32 v12, 5, v18
	s_delay_alu instid0(VALU_DEP_2) | instskip(NEXT) | instid1(VALU_DEP_1)
	v_lshrrev_b32_e32 v11, 27, v11
	v_add_nc_u32_e32 v11, v17, v11
	s_delay_alu instid0(VALU_DEP_1) | instskip(NEXT) | instid1(VALU_DEP_1)
	v_and_b32_e32 v11, 0xffffffe0, v11
	v_sub_nc_u32_e32 v11, v17, v11
	s_delay_alu instid0(VALU_DEP_1) | instskip(NEXT) | instid1(VALU_DEP_1)
	v_sub_nc_u32_e32 v11, v11, v12
	v_ashrrev_i32_e32 v12, 31, v11
	s_delay_alu instid0(VALU_DEP_1) | instskip(NEXT) | instid1(VALU_DEP_1)
	v_lshrrev_b32_e32 v12, 27, v12
	v_add_nc_u32_e32 v12, v11, v12
	s_delay_alu instid0(VALU_DEP_1) | instskip(SKIP_1) | instid1(VALU_DEP_2)
	v_and_b32_e32 v13, 0x7fffffe0, v12
	v_lshlrev_b32_e32 v12, 1, v12
	v_sub_nc_u32_e32 v11, v11, v13
	s_delay_alu instid0(VALU_DEP_2) | instskip(NEXT) | instid1(VALU_DEP_2)
	v_and_b32_e32 v12, 0xffffffc0, v12
	v_lshlrev_b32_e32 v11, 1, v11
	s_delay_alu instid0(VALU_DEP_1) | instskip(NEXT) | instid1(VALU_DEP_1)
	v_add3_u32 v10, v12, v11, v10
	v_sub_nc_u32_e32 v17, v113, v10
	s_delay_alu instid0(VALU_DEP_1)
	v_cmp_lt_i32_e32 vcc_lo, 1, v17
	s_and_b32 exec_lo, exec_lo, vcc_lo
	s_cbranch_execz .LBB4_560
; %bb.545:                              ;   in Loop: Header=BB4_53 Depth=1
	s_cbranch_execnz .LBB4_1702
; %bb.546:                              ;   in Loop: Header=BB4_53 Depth=1
	ds_load_b128 v[11:14], v0
	ds_load_b64 v[18:19], v0
	v_add_nc_u32_e32 v15, v10, v16
	s_bitcmp1_b32 s25, 0
	s_mov_b32 s25, 0
	s_cselect_b32 s26, -1, 0
	s_delay_alu instid0(VALU_DEP_1) | instskip(SKIP_2) | instid1(VALU_DEP_2)
	v_ashrrev_i32_e32 v16, 31, v15
	s_waitcnt lgkmcnt(1)
	v_add_co_u32 v10, vcc_lo, v11, v15
	v_add_co_ci_u32_e32 v11, vcc_lo, v12, v16, vcc_lo
	v_add_co_u32 v12, vcc_lo, v13, v15
	v_add_co_ci_u32_e32 v13, vcc_lo, v14, v16, vcc_lo
	s_waitcnt lgkmcnt(0)
	v_add_co_u32 v14, vcc_lo, v18, v15
	v_add_co_ci_u32_e32 v15, vcc_lo, v19, v16, vcc_lo
	s_branch .LBB4_550
.LBB4_547:                              ;   in Loop: Header=BB4_550 Depth=2
	s_or_b32 exec_lo, exec_lo, s27
	s_delay_alu instid0(VALU_DEP_1)
	v_mov_b32_e32 v18, v16
.LBB4_548:                              ;   in Loop: Header=BB4_550 Depth=2
	s_or_b32 exec_lo, exec_lo, s13
	s_delay_alu instid0(VALU_DEP_1)
	v_mov_b32_e32 v20, v18
.LBB4_549:                              ;   in Loop: Header=BB4_550 Depth=2
	v_add_co_u32 v10, vcc_lo, v10, v101
	v_sub_nc_u32_e32 v17, v17, v86
	v_add_co_ci_u32_e32 v11, vcc_lo, v11, v102, vcc_lo
	v_add_co_u32 v12, vcc_lo, v12, v101
	v_add_co_ci_u32_e32 v13, vcc_lo, v13, v102, vcc_lo
	flat_store_b16 v[14:15], v20 glc slc dlc
	v_cmp_gt_i32_e32 vcc_lo, 2, v17
	v_add_co_u32 v14, s11, v14, v101
	s_delay_alu instid0(VALU_DEP_1) | instskip(SKIP_1) | instid1(SALU_CYCLE_1)
	v_add_co_ci_u32_e64 v15, s11, v15, v102, s11
	s_or_b32 s25, vcc_lo, s25
	s_and_not1_b32 exec_lo, exec_lo, s25
	s_cbranch_execz .LBB4_560
.LBB4_550:                              ;   Parent Loop BB4_53 Depth=1
                                        ; =>  This Inner Loop Header: Depth=2
	flat_load_u16 v16, v[10:11] slc dlc
	flat_load_u16 v18, v[12:13] slc dlc
	s_mov_b32 s13, -1
	s_and_b32 vcc_lo, exec_lo, s26
	s_waitcnt vmcnt(1) lgkmcnt(1)
	v_and_b32_e32 v20, 0x7fff, v16
	s_waitcnt vmcnt(0) lgkmcnt(0)
	v_and_b32_e32 v19, 0x7fff, v18
	s_delay_alu instid0(VALU_DEP_2) | instskip(NEXT) | instid1(VALU_DEP_2)
	v_cmp_lt_u16_e64 s11, 0x7c00, v20
	v_cmp_gt_u16_e64 s12, 0x7c01, v19
                                        ; implicit-def: $vgpr20
	s_delay_alu instid0(VALU_DEP_1) | instskip(NEXT) | instid1(SALU_CYCLE_1)
	s_and_b32 s27, s11, s12
	s_xor_b32 s27, s27, -1
	s_cbranch_vccz .LBB4_556
; %bb.551:                              ;   in Loop: Header=BB4_550 Depth=2
	v_mov_b32_e32 v20, v18
	s_and_saveexec_b32 s28, s27
	s_cbranch_execz .LBB4_555
; %bb.552:                              ;   in Loop: Header=BB4_550 Depth=2
	v_mov_b32_e32 v20, v16
	s_or_b32 s13, s11, s12
	s_delay_alu instid0(SALU_CYCLE_1)
	s_and_saveexec_b32 s29, s13
; %bb.553:                              ;   in Loop: Header=BB4_550 Depth=2
	v_cmp_gt_f16_e64 s13, v16, v18
	v_cmp_lt_u16_e32 vcc_lo, 0x7c00, v19
	s_delay_alu instid0(VALU_DEP_2)
	v_cndmask_b32_e64 v20, v18, v16, s13
	s_and_b32 s13, s11, vcc_lo
	s_delay_alu instid0(VALU_DEP_1) | instid1(SALU_CYCLE_1)
	v_cndmask_b32_e64 v20, v20, 0x7fff, s13
; %bb.554:                              ;   in Loop: Header=BB4_550 Depth=2
	s_or_b32 exec_lo, exec_lo, s29
.LBB4_555:                              ;   in Loop: Header=BB4_550 Depth=2
	s_delay_alu instid0(SALU_CYCLE_1)
	s_or_b32 exec_lo, exec_lo, s28
	s_mov_b32 s13, 0
.LBB4_556:                              ;   in Loop: Header=BB4_550 Depth=2
	s_delay_alu instid0(SALU_CYCLE_1)
	s_and_not1_b32 vcc_lo, exec_lo, s13
	s_cbranch_vccnz .LBB4_549
; %bb.557:                              ;   in Loop: Header=BB4_550 Depth=2
	s_and_saveexec_b32 s13, s27
	s_cbranch_execz .LBB4_548
; %bb.558:                              ;   in Loop: Header=BB4_550 Depth=2
	s_or_b32 s12, s11, s12
	s_delay_alu instid0(SALU_CYCLE_1)
	s_and_saveexec_b32 s27, s12
	s_cbranch_execz .LBB4_547
; %bb.559:                              ;   in Loop: Header=BB4_550 Depth=2
	v_cmp_gt_f16_e64 s12, v16, v18
	v_cmp_lt_u16_e32 vcc_lo, 0x7c00, v19
	s_delay_alu instid0(VALU_DEP_2)
	v_cndmask_b32_e64 v16, v16, v18, s12
	s_and_b32 s11, s11, vcc_lo
	s_delay_alu instid0(VALU_DEP_1) | instid1(SALU_CYCLE_1)
	v_cndmask_b32_e64 v16, v16, 0x7fff, s11
	s_branch .LBB4_547
.LBB4_560:                              ;   in Loop: Header=BB4_53 Depth=1
	s_or_b32 exec_lo, exec_lo, s14
	v_cmp_ne_u32_e64 s11, 0, v51
.LBB4_561:                              ;   in Loop: Header=BB4_53 Depth=1
	s_and_saveexec_b32 s12, s3
	s_cbranch_execz .LBB4_583
; %bb.562:                              ;   in Loop: Header=BB4_53 Depth=1
	s_and_saveexec_b32 s13, s4
	s_delay_alu instid0(SALU_CYCLE_1)
	s_xor_b32 s13, exec_lo, s13
	s_cbranch_execz .LBB4_580
; %bb.563:                              ;   in Loop: Header=BB4_53 Depth=1
	s_and_saveexec_b32 s14, s5
	s_cbranch_execz .LBB4_579
; %bb.564:                              ;   in Loop: Header=BB4_53 Depth=1
	s_mov_b32 s26, exec_lo
	s_mov_b32 s25, exec_lo
	v_mbcnt_lo_u32_b32 v10, s26, 0
	s_waitcnt lgkmcnt(0)
	s_waitcnt_vscnt null, 0x0
	buffer_gl1_inv
	buffer_gl0_inv
	v_cmpx_eq_u32_e32 0, v10
	s_cbranch_execz .LBB4_566
; %bb.565:                              ;   in Loop: Header=BB4_53 Depth=1
	s_bcnt1_i32_b32 s26, s26
	s_delay_alu instid0(SALU_CYCLE_1)
	v_mov_b32_e32 v51, s26
	ds_add_u64 v0, v[51:52]
	s_cbranch_execnz .LBB4_1696
.LBB4_566:                              ;   in Loop: Header=BB4_53 Depth=1
	s_or_b32 exec_lo, exec_lo, s25
	s_cbranch_execnz .LBB4_1674
; %bb.567:                              ;   in Loop: Header=BB4_53 Depth=1
	ds_load_b64 v[10:11], v0
	v_add_co_u32 v36, vcc_lo, v36, v82
	v_add_co_ci_u32_e32 v37, vcc_lo, 0, v37, vcc_lo
	s_mov_b32 s25, exec_lo
	s_waitcnt lgkmcnt(0)
	s_delay_alu instid0(VALU_DEP_1)
	v_cmpx_lt_u64_e64 v[10:11], v[36:37]
	s_cbranch_execz .LBB4_578
; %bb.568:                              ;   in Loop: Header=BB4_53 Depth=1
	s_mov_b32 s26, 0
	s_mov_b32 s29, 0
                                        ; implicit-def: $sgpr27
                                        ; implicit-def: $sgpr28
	s_branch .LBB4_570
.LBB4_569:                              ;   in Loop: Header=BB4_570 Depth=2
	s_or_b32 exec_lo, exec_lo, s30
	s_delay_alu instid0(SALU_CYCLE_1) | instskip(NEXT) | instid1(SALU_CYCLE_1)
	s_and_b32 vcc_lo, exec_lo, vcc_lo
	s_or_b32 s26, vcc_lo, s26
	s_and_not1_b32 s27, s27, exec_lo
	s_and_b32 vcc_lo, s28, exec_lo
	s_delay_alu instid0(SALU_CYCLE_1)
	s_or_b32 s27, s27, vcc_lo
	s_and_not1_b32 exec_lo, exec_lo, s26
	s_cbranch_execz .LBB4_576
.LBB4_570:                              ;   Parent Loop BB4_53 Depth=1
                                        ; =>  This Inner Loop Header: Depth=2
	s_add_i32 s29, s29, 1
                                        ; implicit-def: $sgpr30
	s_delay_alu instid0(SALU_CYCLE_1) | instskip(SKIP_1) | instid1(SALU_CYCLE_1)
	s_cmpk_lg_i32 s29, 0x2710
	s_cselect_b32 vcc_hi, -1, 0
	s_and_b32 vcc_lo, exec_lo, vcc_hi
	s_cbranch_vccz .LBB4_574
.LBB4_571:                              ;   in Loop: Header=BB4_570 Depth=2
	s_and_not1_b32 s28, s28, exec_lo
	s_and_b32 s30, s30, exec_lo
	s_mov_b32 vcc_lo, -1
	s_or_b32 s28, s28, s30
	s_and_saveexec_b32 s30, vcc_hi
	s_cbranch_execz .LBB4_569
; %bb.572:                              ;   in Loop: Header=BB4_570 Depth=2
	s_sleep 1
	s_cbranch_execnz .LBB4_1712
; %bb.573:                              ;   in Loop: Header=BB4_570 Depth=2
	ds_load_b64 v[10:11], v0
	s_and_not1_b32 s28, s28, exec_lo
	s_waitcnt lgkmcnt(0)
	v_cmp_ge_u64_e32 vcc_lo, v[10:11], v[36:37]
	s_or_not1_b32 vcc_lo, vcc_lo, exec_lo
	s_branch .LBB4_569
.LBB4_574:                              ;   in Loop: Header=BB4_570 Depth=2
	s_cbranch_execnz .LBB4_1716
; %bb.575:                              ;   in Loop: Header=BB4_570 Depth=2
	ds_load_b64 v[10:11], v0
	s_mov_b32 s29, 0
	s_mov_b32 s30, -1
	s_waitcnt lgkmcnt(0)
	flat_load_b32 v10, v[10:11] glc
	s_waitcnt vmcnt(0) lgkmcnt(0)
	buffer_gl1_inv
	buffer_gl0_inv
	v_cmp_eq_u32_e32 vcc_lo, 0, v10
	s_and_not1_b32 vcc_hi, vcc_hi, exec_lo
	s_and_b32 vcc_lo, vcc_lo, exec_lo
	s_delay_alu instid0(SALU_CYCLE_1)
	s_or_b32 vcc_hi, vcc_hi, vcc_lo
	s_branch .LBB4_571
.LBB4_576:                              ;   in Loop: Header=BB4_53 Depth=1
	s_or_b32 exec_lo, exec_lo, s26
	s_and_saveexec_b32 s26, s27
	s_delay_alu instid0(SALU_CYCLE_1)
	s_xor_b32 s26, exec_lo, s26
	s_cbranch_execz .LBB4_578
; %bb.577:                              ;   in Loop: Header=BB4_53 Depth=1
	ds_store_b32 v0, v103
	s_cbranch_execnz .LBB4_1740
.LBB4_578:                              ;   in Loop: Header=BB4_53 Depth=1
	s_or_b32 exec_lo, exec_lo, s25
	;;#ASMSTART
	s_wakeup
	;;#ASMEND
.LBB4_579:                              ;   in Loop: Header=BB4_53 Depth=1
	s_or_b32 exec_lo, exec_lo, s14
.LBB4_580:                              ;   in Loop: Header=BB4_53 Depth=1
	s_and_not1_saveexec_b32 s13, s13
	s_cbranch_execz .LBB4_582
; %bb.581:                              ;   in Loop: Header=BB4_53 Depth=1
	s_waitcnt lgkmcnt(0)
	s_waitcnt_vscnt null, 0x0
	buffer_gl1_inv
	buffer_gl0_inv
	s_barrier
.LBB4_582:                              ;   in Loop: Header=BB4_53 Depth=1
	s_or_b32 exec_lo, exec_lo, s13
.LBB4_583:                              ;   in Loop: Header=BB4_53 Depth=1
	s_delay_alu instid0(SALU_CYCLE_1) | instskip(SKIP_1) | instid1(VALU_DEP_1)
	s_or_b32 exec_lo, exec_lo, s12
	v_and_b32_e32 v10, 16, v30
	v_cmp_ne_u32_e32 vcc_lo, 0, v10
	s_and_b32 s12, vcc_lo, s11
	s_delay_alu instid0(SALU_CYCLE_1)
	s_and_saveexec_b32 s11, s12
	s_cbranch_execz .LBB4_585
; %bb.584:                              ;   in Loop: Header=BB4_53 Depth=1
	s_waitcnt lgkmcnt(0)
	s_waitcnt_vscnt null, 0x0
	buffer_gl1_inv
	buffer_gl0_inv
.LBB4_585:                              ;   in Loop: Header=BB4_53 Depth=1
	s_or_b32 exec_lo, exec_lo, s11
	v_cmp_ne_u32_e32 vcc_lo, 0, v10
	s_xor_b32 s11, s10, -1
	s_delay_alu instid0(SALU_CYCLE_1) | instskip(NEXT) | instid1(SALU_CYCLE_1)
	s_and_b32 s12, vcc_lo, s11
	s_and_saveexec_b32 s11, s12
	s_cbranch_execz .LBB4_587
; %bb.586:                              ;   in Loop: Header=BB4_53 Depth=1
	s_waitcnt lgkmcnt(0)
	s_waitcnt_vscnt null, 0x0
	flat_store_b32 v[48:49], v103
.LBB4_587:                              ;   in Loop: Header=BB4_53 Depth=1
	s_or_b32 exec_lo, exec_lo, s11
	v_and_b32_e32 v10, 48, v30
	s_mov_b32 s11, exec_lo
	s_delay_alu instid0(VALU_DEP_1)
	v_cmpx_ne_u32_e32 0, v10
	s_cbranch_execz .LBB4_589
; %bb.588:                              ;   in Loop: Header=BB4_53 Depth=1
	v_add_co_u32 v8, vcc_lo, v8, 1
	v_add_co_ci_u32_e32 v9, vcc_lo, 0, v9, vcc_lo
	s_waitcnt lgkmcnt(0)
	s_waitcnt_vscnt null, 0x0
	flat_store_b64 v[28:29], v[8:9]
.LBB4_589:                              ;   in Loop: Header=BB4_53 Depth=1
	s_or_b32 exec_lo, exec_lo, s11
	v_mov_b32_e32 v12, v112
.LBB4_590:                              ;   in Loop: Header=BB4_53 Depth=1
	s_or_b32 exec_lo, exec_lo, s24
	s_and_saveexec_b32 s12, s23
	s_cbranch_execz .LBB4_650
; %bb.591:                              ;   in Loop: Header=BB4_53 Depth=1
	v_and_b32_e32 v10, 12, v30
	s_mov_b32 s13, -1
	s_mov_b32 s11, exec_lo
	s_delay_alu instid0(VALU_DEP_1)
	v_cmpx_ne_u32_e32 0, v10
	s_cbranch_execz .LBB4_605
; %bb.592:                              ;   in Loop: Header=BB4_53 Depth=1
	v_and_b32_e32 v13, 8, v30
	s_delay_alu instid0(VALU_DEP_1) | instskip(SKIP_4) | instid1(VALU_DEP_1)
	v_add_co_u32 v14, vcc_lo, v34, v13
	v_add_co_ci_u32_e32 v15, vcc_lo, 0, v35, vcc_lo
	s_waitcnt lgkmcnt(0)
	v_add_co_u32 v10, vcc_lo, v8, 1
	v_add_co_ci_u32_e32 v11, vcc_lo, 0, v9, vcc_lo
	v_cmp_lt_u64_e32 vcc_lo, v[14:15], v[10:11]
	v_mov_b32_e32 v14, 1
	s_and_saveexec_b32 s13, vcc_lo
	s_cbranch_execz .LBB4_604
; %bb.593:                              ;   in Loop: Header=BB4_53 Depth=1
	v_mov_b32_e32 v14, 0
	s_mov_b32 s14, 0
                                        ; implicit-def: $sgpr23
	s_branch .LBB4_597
.LBB4_594:                              ;   in Loop: Header=BB4_597 Depth=2
	s_or_b32 exec_lo, exec_lo, s27
	v_mov_b32_e32 v15, 0
	s_or_not1_b32 s26, s26, exec_lo
.LBB4_595:                              ;   in Loop: Header=BB4_597 Depth=2
	s_or_b32 exec_lo, exec_lo, s25
	s_delay_alu instid0(VALU_DEP_1) | instskip(SKIP_2) | instid1(SALU_CYCLE_1)
	v_mov_b32_e32 v14, v15
	s_and_not1_b32 s23, s23, exec_lo
	s_and_b32 s25, s26, exec_lo
	s_or_b32 s23, s23, s25
.LBB4_596:                              ;   in Loop: Header=BB4_597 Depth=2
	s_or_b32 exec_lo, exec_lo, s24
	s_waitcnt vmcnt(0) lgkmcnt(0)
	v_add_co_u32 v15, vcc_lo, v34, v13
	v_add_co_ci_u32_e32 v16, vcc_lo, 0, v35, vcc_lo
	s_xor_b32 s24, s23, -1
	s_delay_alu instid0(VALU_DEP_1) | instskip(SKIP_1) | instid1(SALU_CYCLE_1)
	v_cmp_ge_u64_e32 vcc_lo, v[15:16], v[10:11]
	s_or_b32 s24, s24, vcc_lo
	s_and_b32 s24, exec_lo, s24
	s_delay_alu instid0(SALU_CYCLE_1) | instskip(NEXT) | instid1(SALU_CYCLE_1)
	s_or_b32 s14, s24, s14
	s_and_not1_b32 exec_lo, exec_lo, s14
	s_cbranch_execz .LBB4_603
.LBB4_597:                              ;   Parent Loop BB4_53 Depth=1
                                        ; =>  This Inner Loop Header: Depth=2
	s_sleep 1
	flat_load_b64 v[34:35], v[28:29] glc
	v_and_b32_e32 v15, 64, v30
	s_and_not1_b32 s23, s23, exec_lo
	s_mov_b32 s24, exec_lo
	s_delay_alu instid0(VALU_DEP_1)
	v_cmpx_eq_u32_e32 0, v15
	s_cbranch_execz .LBB4_596
; %bb.598:                              ;   in Loop: Header=BB4_597 Depth=2
	v_add_nc_u32_e32 v15, 1, v14
	s_mov_b32 s26, -1
	s_mov_b32 s25, exec_lo
	v_cmpx_lt_i32_e32 0x270e, v14
	s_cbranch_execz .LBB4_595
; %bb.599:                              ;   in Loop: Header=BB4_597 Depth=2
	s_cbranch_execnz .LBB4_1560
; %bb.600:                              ;   in Loop: Header=BB4_597 Depth=2
	ds_load_b64 v[14:15], v0
	s_mov_b32 s27, exec_lo
	s_waitcnt vmcnt(0) lgkmcnt(0)
	s_waitcnt_vscnt null, 0x0
	flat_load_b32 v14, v[14:15] glc
	s_waitcnt vmcnt(0) lgkmcnt(0)
	buffer_gl1_inv
	buffer_gl0_inv
	v_cmpx_ne_u32_e32 0, v14
	s_cbranch_execz .LBB4_594
; %bb.601:                              ;   in Loop: Header=BB4_597 Depth=2
	ds_store_b32 v0, v14
	s_cbranch_execnz .LBB4_1586
; %bb.602:                              ;   in Loop: Header=BB4_597 Depth=2
	v_or_b32_e32 v30, 64, v30
	s_xor_b32 s26, exec_lo, -1
	s_branch .LBB4_594
.LBB4_603:                              ;   in Loop: Header=BB4_53 Depth=1
	s_or_b32 exec_lo, exec_lo, s14
	v_and_b32_e32 v14, 12, v30
.LBB4_604:                              ;   in Loop: Header=BB4_53 Depth=1
	s_or_b32 exec_lo, exec_lo, s13
	s_delay_alu instid0(VALU_DEP_1)
	v_cmp_eq_u32_e32 vcc_lo, 0, v14
	;;#ASMSTART
	s_wakeup
	;;#ASMEND
	s_or_not1_b32 s13, vcc_lo, exec_lo
.LBB4_605:                              ;   in Loop: Header=BB4_53 Depth=1
	s_or_b32 exec_lo, exec_lo, s11
	v_sub_nc_u32_e32 v10, v50, v12
	s_xor_b32 s11, s13, -1
	s_delay_alu instid0(VALU_DEP_1)
	v_min_i32_e32 v10, v112, v10
	s_and_saveexec_b32 s13, s11
	s_cbranch_execz .LBB4_620
; %bb.606:                              ;   in Loop: Header=BB4_53 Depth=1
	v_and_b32_e32 v11, 0x108, v30
	s_mov_b32 s11, exec_lo
	s_delay_alu instid0(VALU_DEP_1)
	v_cmpx_ne_u32_e32 0x108, v11
	s_xor_b32 s11, exec_lo, s11
                                        ; implicit-def: $vgpr12_vgpr13
	s_cbranch_execz .LBB4_608
; %bb.607:                              ;   in Loop: Header=BB4_53 Depth=1
	s_waitcnt lgkmcnt(0)
	v_and_b32_e32 v12, 7, v8
.LBB4_608:                              ;   in Loop: Header=BB4_53 Depth=1
	s_and_not1_saveexec_b32 s11, s11
	s_cbranch_execz .LBB4_610
; %bb.609:                              ;   in Loop: Header=BB4_53 Depth=1
	s_waitcnt lgkmcnt(0)
	v_and_b32_e32 v12, 7, v8
	v_ashrrev_i32_e32 v11, 31, v10
	s_delay_alu instid0(VALU_DEP_2) | instskip(NEXT) | instid1(VALU_DEP_2)
	v_mad_u64_u32 v[13:14], null, v12, 24, v[6:7]
	v_lshlrev_b64 v[15:16], 1, v[10:11]
	flat_store_b64 v[13:14], v[15:16] offset:8
.LBB4_610:                              ;   in Loop: Header=BB4_53 Depth=1
	s_or_b32 exec_lo, exec_lo, s11
	v_and_b32_e32 v11, 0x100, v30
	s_mov_b32 s11, -1
	s_mov_b32 s14, exec_lo
                                        ; implicit-def: $vgpr13_vgpr14
	s_delay_alu instid0(VALU_DEP_1)
	v_cmpx_ne_u32_e32 0, v11
	s_cbranch_execnz .LBB4_613
; %bb.611:                              ;   in Loop: Header=BB4_53 Depth=1
	s_or_b32 exec_lo, exec_lo, s14
	s_and_saveexec_b32 s14, s11
	s_cbranch_execnz .LBB4_616
.LBB4_612:                              ;   in Loop: Header=BB4_53 Depth=1
	s_or_b32 exec_lo, exec_lo, s14
	s_cbranch_execnz .LBB4_1552
	s_branch .LBB4_617
.LBB4_613:                              ;   in Loop: Header=BB4_53 Depth=1
	v_mad_u64_u32 v[15:16], null, v12, 24, v[6:7]
	s_mov_b32 s23, exec_lo
	s_delay_alu instid0(VALU_DEP_1) | instskip(NEXT) | instid1(VALU_DEP_1)
	v_mov_b32_e32 v11, v16
	v_mad_u64_u32 v[13:14], null, v52, 24, v[11:12]
	s_delay_alu instid0(VALU_DEP_1)
	v_mov_b32_e32 v16, v13
                                        ; implicit-def: $vgpr13_vgpr14
	flat_load_b32 v11, v[15:16]
	s_waitcnt vmcnt(0) lgkmcnt(0)
	v_cmp_ne_u32_e32 vcc_lo, 1, v11
	v_cmpx_eq_u32_e32 1, v11
	s_cbranch_execz .LBB4_615
; %bb.614:                              ;   in Loop: Header=BB4_53 Depth=1
	flat_load_b32 v13, v[15:16] offset:4 glc
	s_waitcnt vmcnt(0) lgkmcnt(0)
	v_ashrrev_i32_e32 v14, 31, v13
	s_delay_alu instid0(VALU_DEP_1)
	v_lshrrev_b64 v[13:14], 1, v[13:14]
.LBB4_615:                              ;   in Loop: Header=BB4_53 Depth=1
	s_or_b32 exec_lo, exec_lo, s23
	s_delay_alu instid0(SALU_CYCLE_1)
	s_or_not1_b32 s11, vcc_lo, exec_lo
	s_or_b32 exec_lo, exec_lo, s14
	s_and_saveexec_b32 s14, s11
	s_cbranch_execz .LBB4_612
.LBB4_616:                              ;   in Loop: Header=BB4_53 Depth=1
	v_mul_lo_u32 v11, v52, v81
	v_mul_lo_u32 v15, v12, v55
	v_mad_u64_u32 v[13:14], null, v12, v81, 0
	s_delay_alu instid0(VALU_DEP_1)
	v_add3_u32 v14, v14, v15, v11
	s_or_b32 exec_lo, exec_lo, s14
	s_cbranch_execnz .LBB4_1552
.LBB4_617:                              ;   in Loop: Header=BB4_53 Depth=1
	s_delay_alu instid0(VALU_DEP_1) | instskip(SKIP_3) | instid1(VALU_DEP_2)
	v_lshlrev_b64 v[11:12], 1, v[13:14]
	v_and_b32_e32 v13, 0x2000, v30
	s_mov_b32 s11, exec_lo
	s_waitcnt lgkmcnt(0)
	v_add_co_u32 v11, vcc_lo, v32, v11
	s_delay_alu instid0(VALU_DEP_3)
	v_add_co_ci_u32_e32 v12, vcc_lo, v33, v12, vcc_lo
	ds_store_b64 v0, v[11:12]
	v_cmpx_ne_u32_e32 0, v13
	s_cbranch_execz .LBB4_619
; %bb.618:                              ;   in Loop: Header=BB4_53 Depth=1
	ds_load_b64 v[11:12], v0 offset:584
	s_waitcnt lgkmcnt(0)
	v_add_co_u32 v11, vcc_lo, v11, 1
	v_add_co_ci_u32_e32 v12, vcc_lo, 0, v12, vcc_lo
	ds_store_b64 v0, v[11:12] offset:584
.LBB4_619:                              ;   in Loop: Header=BB4_53 Depth=1
	s_or_b32 exec_lo, exec_lo, s11
	v_add_co_u32 v8, vcc_lo, v8, 1
	v_add_co_ci_u32_e32 v9, vcc_lo, 0, v9, vcc_lo
.LBB4_620:                              ;   in Loop: Header=BB4_53 Depth=1
	s_or_b32 exec_lo, exec_lo, s13
	s_and_saveexec_b32 s11, s3
	s_cbranch_execz .LBB4_642
; %bb.621:                              ;   in Loop: Header=BB4_53 Depth=1
	s_and_saveexec_b32 s13, s4
	s_delay_alu instid0(SALU_CYCLE_1)
	s_xor_b32 s13, exec_lo, s13
	s_cbranch_execz .LBB4_639
; %bb.622:                              ;   in Loop: Header=BB4_53 Depth=1
	s_and_saveexec_b32 s14, s5
	s_cbranch_execz .LBB4_638
; %bb.623:                              ;   in Loop: Header=BB4_53 Depth=1
	s_mov_b32 s24, exec_lo
	s_mov_b32 s23, exec_lo
	v_mbcnt_lo_u32_b32 v11, s24, 0
	s_waitcnt lgkmcnt(0)
	s_waitcnt_vscnt null, 0x0
	buffer_gl1_inv
	buffer_gl0_inv
	v_cmpx_eq_u32_e32 0, v11
	s_cbranch_execz .LBB4_625
; %bb.624:                              ;   in Loop: Header=BB4_53 Depth=1
	s_bcnt1_i32_b32 s24, s24
	s_delay_alu instid0(SALU_CYCLE_1)
	v_mov_b32_e32 v51, s24
	ds_add_u64 v0, v[51:52]
	s_cbranch_execnz .LBB4_1618
.LBB4_625:                              ;   in Loop: Header=BB4_53 Depth=1
	s_or_b32 exec_lo, exec_lo, s23
	s_cbranch_execnz .LBB4_1602
; %bb.626:                              ;   in Loop: Header=BB4_53 Depth=1
	ds_load_b64 v[11:12], v0
	v_add_co_u32 v36, vcc_lo, v36, v82
	v_add_co_ci_u32_e32 v37, vcc_lo, 0, v37, vcc_lo
	s_mov_b32 s23, exec_lo
	s_waitcnt lgkmcnt(0)
	s_delay_alu instid0(VALU_DEP_1)
	v_cmpx_lt_u64_e64 v[11:12], v[36:37]
	s_cbranch_execz .LBB4_637
; %bb.627:                              ;   in Loop: Header=BB4_53 Depth=1
	s_mov_b32 s24, 0
	s_mov_b32 s27, 0
                                        ; implicit-def: $sgpr25
                                        ; implicit-def: $sgpr26
	s_branch .LBB4_629
.LBB4_628:                              ;   in Loop: Header=BB4_629 Depth=2
	s_or_b32 exec_lo, exec_lo, vcc_hi
	s_delay_alu instid0(SALU_CYCLE_1) | instskip(NEXT) | instid1(SALU_CYCLE_1)
	s_and_b32 s28, exec_lo, s29
	s_or_b32 s24, s28, s24
	s_and_not1_b32 s25, s25, exec_lo
	s_and_b32 s28, s26, exec_lo
	s_delay_alu instid0(SALU_CYCLE_1)
	s_or_b32 s25, s25, s28
	s_and_not1_b32 exec_lo, exec_lo, s24
	s_cbranch_execz .LBB4_635
.LBB4_629:                              ;   Parent Loop BB4_53 Depth=1
                                        ; =>  This Inner Loop Header: Depth=2
	s_add_i32 s27, s27, 1
                                        ; implicit-def: $sgpr29
	s_delay_alu instid0(SALU_CYCLE_1) | instskip(SKIP_1) | instid1(SALU_CYCLE_1)
	s_cmpk_lg_i32 s27, 0x2710
	s_cselect_b32 s28, -1, 0
	s_and_b32 vcc_lo, exec_lo, s28
	s_cbranch_vccz .LBB4_633
.LBB4_630:                              ;   in Loop: Header=BB4_629 Depth=2
	s_and_not1_b32 s26, s26, exec_lo
	s_and_b32 vcc_lo, s29, exec_lo
	s_mov_b32 s29, -1
	s_or_b32 s26, s26, vcc_lo
	s_and_saveexec_b32 vcc_hi, s28
	s_cbranch_execz .LBB4_628
; %bb.631:                              ;   in Loop: Header=BB4_629 Depth=2
	s_sleep 1
	s_cbranch_execnz .LBB4_1654
; %bb.632:                              ;   in Loop: Header=BB4_629 Depth=2
	ds_load_b64 v[11:12], v0
	s_and_not1_b32 s26, s26, exec_lo
	s_waitcnt lgkmcnt(0)
	v_cmp_ge_u64_e32 vcc_lo, v[11:12], v[36:37]
	s_or_not1_b32 s29, vcc_lo, exec_lo
	s_branch .LBB4_628
.LBB4_633:                              ;   in Loop: Header=BB4_629 Depth=2
	s_cbranch_execnz .LBB4_1670
; %bb.634:                              ;   in Loop: Header=BB4_629 Depth=2
	ds_load_b64 v[11:12], v0
	s_and_not1_b32 s28, s28, exec_lo
	s_mov_b32 s27, 0
	s_mov_b32 s29, -1
	s_waitcnt lgkmcnt(0)
	flat_load_b32 v11, v[11:12] glc
	s_waitcnt vmcnt(0) lgkmcnt(0)
	buffer_gl1_inv
	buffer_gl0_inv
	v_cmp_eq_u32_e32 vcc_lo, 0, v11
	s_and_b32 vcc_lo, vcc_lo, exec_lo
	s_delay_alu instid0(SALU_CYCLE_1)
	s_or_b32 s28, s28, vcc_lo
	s_branch .LBB4_630
.LBB4_635:                              ;   in Loop: Header=BB4_53 Depth=1
	s_or_b32 exec_lo, exec_lo, s24
	s_and_saveexec_b32 s24, s25
	s_delay_alu instid0(SALU_CYCLE_1)
	s_xor_b32 s24, exec_lo, s24
	s_cbranch_execz .LBB4_637
; %bb.636:                              ;   in Loop: Header=BB4_53 Depth=1
	ds_store_b32 v0, v103
	s_cbranch_execnz .LBB4_1730
.LBB4_637:                              ;   in Loop: Header=BB4_53 Depth=1
	s_or_b32 exec_lo, exec_lo, s23
	;;#ASMSTART
	s_wakeup
	;;#ASMEND
.LBB4_638:                              ;   in Loop: Header=BB4_53 Depth=1
	s_or_b32 exec_lo, exec_lo, s14
.LBB4_639:                              ;   in Loop: Header=BB4_53 Depth=1
	s_and_not1_saveexec_b32 s13, s13
	s_cbranch_execz .LBB4_641
; %bb.640:                              ;   in Loop: Header=BB4_53 Depth=1
	s_waitcnt lgkmcnt(0)
	s_waitcnt_vscnt null, 0x0
	buffer_gl1_inv
	buffer_gl0_inv
	s_barrier
.LBB4_641:                              ;   in Loop: Header=BB4_53 Depth=1
	s_or_b32 exec_lo, exec_lo, s13
.LBB4_642:                              ;   in Loop: Header=BB4_53 Depth=1
	s_delay_alu instid0(SALU_CYCLE_1)
	s_or_b32 exec_lo, exec_lo, s11
	s_cbranch_execnz .LBB4_1541
; %bb.643:                              ;   in Loop: Header=BB4_53 Depth=1
	ds_load_b32 v11, v0
	v_cmp_lt_i32_e32 vcc_lo, 0, v10
	s_waitcnt lgkmcnt(0)
	v_readfirstlane_b32 s11, v11
	v_and_b32_e32 v11, 16, v30
	s_delay_alu instid0(VALU_DEP_2) | instskip(NEXT) | instid1(VALU_DEP_1)
	s_cmp_eq_u32 s11, 0
	v_cmp_ne_u32_e64 s11, 0, v11
	s_cselect_b32 s13, -1, 0
	s_delay_alu instid0(SALU_CYCLE_1)
	s_and_b32 s13, vcc_lo, s13
	s_delay_alu instid0(VALU_DEP_1) | instid1(SALU_CYCLE_1)
	s_and_b32 s13, s11, s13
	s_delay_alu instid0(SALU_CYCLE_1)
	s_and_saveexec_b32 s11, s13
	s_cbranch_execz .LBB4_645
; %bb.644:                              ;   in Loop: Header=BB4_53 Depth=1
	s_waitcnt_vscnt null, 0x0
	buffer_gl1_inv
	buffer_gl0_inv
.LBB4_645:                              ;   in Loop: Header=BB4_53 Depth=1
	s_or_b32 exec_lo, exec_lo, s11
	v_cmp_ne_u32_e32 vcc_lo, 0, v11
	s_xor_b32 s11, s10, -1
	s_delay_alu instid0(SALU_CYCLE_1) | instskip(NEXT) | instid1(SALU_CYCLE_1)
	s_and_b32 s13, vcc_lo, s11
	s_and_saveexec_b32 s11, s13
	s_cbranch_execz .LBB4_647
; %bb.646:                              ;   in Loop: Header=BB4_53 Depth=1
	s_waitcnt_vscnt null, 0x0
	flat_store_b32 v[48:49], v103
.LBB4_647:                              ;   in Loop: Header=BB4_53 Depth=1
	s_or_b32 exec_lo, exec_lo, s11
	v_and_b32_e32 v10, 48, v30
	s_mov_b32 s11, exec_lo
	s_delay_alu instid0(VALU_DEP_1)
	v_cmpx_ne_u32_e32 0, v10
	s_cbranch_execz .LBB4_649
; %bb.648:                              ;   in Loop: Header=BB4_53 Depth=1
	v_add_co_u32 v8, vcc_lo, v8, 1
	v_add_co_ci_u32_e32 v9, vcc_lo, 0, v9, vcc_lo
	s_waitcnt lgkmcnt(0)
	s_waitcnt_vscnt null, 0x0
	flat_store_b64 v[28:29], v[8:9]
.LBB4_649:                              ;   in Loop: Header=BB4_53 Depth=1
	s_or_b32 exec_lo, exec_lo, s11
.LBB4_650:                              ;   in Loop: Header=BB4_53 Depth=1
	s_delay_alu instid0(SALU_CYCLE_1) | instskip(SKIP_2) | instid1(VALU_DEP_1)
	s_or_b32 exec_lo, exec_lo, s12
	v_add_co_u32 v53, vcc_lo, v53, v38
	v_add_co_ci_u32_e32 v54, vcc_lo, 0, v54, vcc_lo
	v_cmp_ge_u64_e32 vcc_lo, v[53:54], v[4:5]
	s_or_b32 s20, vcc_lo, s20
	s_delay_alu instid0(SALU_CYCLE_1)
	s_and_not1_b32 exec_lo, exec_lo, s20
	s_cbranch_execnz .LBB4_53
; %bb.651:
	s_or_b32 exec_lo, exec_lo, s20
.LBB4_652:
	s_delay_alu instid0(SALU_CYCLE_1)
	s_or_b32 exec_lo, exec_lo, s19
                                        ; implicit-def: $vgpr50_vgpr51
                                        ; implicit-def: $vgpr4_vgpr5
                                        ; implicit-def: $vgpr81
                                        ; implicit-def: $vgpr34_vgpr35
                                        ; implicit-def: $vgpr32_vgpr33
                                        ; implicit-def: $vgpr28_vgpr29
                                        ; implicit-def: $vgpr0
                                        ; implicit-def: $vgpr22
                                        ; implicit-def: $vgpr38_vgpr39
.LBB4_653:
	s_and_not1_saveexec_b32 s13, s18
	s_cbranch_execz .LBB4_1245
; %bb.654:
	v_mov_b32_e32 v36, 0
	v_mov_b32_e32 v37, 0
	s_and_saveexec_b32 s14, s1
	s_cbranch_execz .LBB4_1244
; %bb.655:
	v_cmp_ge_i32_e64 s1, v0, v1
	s_cbranch_execnz .LBB4_1497
; %bb.656:
	v_ashrrev_i32_e32 v10, 31, v0
	v_lshrrev_b32_e32 v70, 5, v1
	v_dual_mov_b32 v52, 0 :: v_dual_and_b32 v11, 31, v31
	s_lshr_b32 s4, s16, 27
	s_delay_alu instid0(VALU_DEP_3) | instskip(NEXT) | instid1(VALU_DEP_3)
	v_lshrrev_b32_e32 v10, 27, v10
	v_dual_mov_b32 v101, 1 :: v_dual_lshlrev_b32 v82, 9, v70
	s_add_i32 s10, s16, s4
	v_cmp_eq_u32_e64 s4, 0, v11
	s_waitcnt lgkmcnt(2)
	v_dual_mov_b32 v49, 0 :: v_dual_add_nc_u32 v10, v0, v10
	v_add_nc_u32_e32 v13, 0xfffffe00, v82
	v_cmp_eq_u32_e32 vcc_lo, 32, v1
	v_cmp_ne_u32_e64 s2, 32, v1
	s_delay_alu instid0(VALU_DEP_4) | instskip(SKIP_3) | instid1(VALU_DEP_4)
	v_dual_mov_b32 v53, 0 :: v_dual_and_b32 v12, 0xffffffe0, v10
	v_ashrrev_i32_e32 v71, 5, v10
	v_lshl_add_u32 v10, v70, 10, 0xfffffc00
	v_dual_mov_b32 v36, v52 :: v_dual_lshlrev_b32 v83, 6, v70
	v_sub_nc_u32_e32 v84, v0, v12
	s_delay_alu instid0(VALU_DEP_4) | instskip(NEXT) | instid1(VALU_DEP_4)
	v_dual_mov_b32 v37, v53 :: v_dual_lshlrev_b32 v12, 10, v71
	v_ashrrev_i32_e32 v11, 31, v10
	s_delay_alu instid0(VALU_DEP_4)
	v_subrev_nc_u32_e32 v14, 64, v83
	v_add_co_u32 v86, s5, 0x400, v10
	v_ashrrev_i32_e32 v10, 31, v13
	v_add_co_u32 v97, s7, 0x200, v13
	v_lshl_add_u32 v85, v84, 4, v12
	v_add_co_ci_u32_e64 v87, s5, 0, v11, s5
	s_delay_alu instid0(VALU_DEP_4)
	v_add_co_ci_u32_e64 v98, s7, 0, v10, s7
	v_ashrrev_i32_e32 v10, 31, v14
	v_add_co_u32 v99, s7, v14, 64
	v_cmp_ne_u32_e64 s3, v80, v1
	v_cmp_le_i32_e64 s5, v84, v22
	v_cmp_gt_i32_e64 s6, 1, v84
	v_ashrrev_i32_e32 v96, 31, v85
	v_add_co_ci_u32_e64 v100, s7, 0, v10, s7
	s_ashr_i32 s19, s10, 5
	s_mov_b32 s18, 0
	s_xor_b32 s20, vcc_lo, -1
.LBB4_657:                              ; =>This Loop Header: Depth=1
                                        ;     Child Loop BB4_667 Depth 2
                                        ;     Child Loop BB4_694 Depth 2
	;; [unrolled: 1-line block ×10, first 2 shown]
	v_sub_co_u32 v10, vcc_lo, v4, v52
	v_sub_co_ci_u32_e32 v11, vcc_lo, v5, v53, vcc_lo
	v_mov_b32_e32 v14, 0
	s_delay_alu instid0(VALU_DEP_2) | instskip(SKIP_2) | instid1(VALU_DEP_2)
	v_cmp_lt_u64_e32 vcc_lo, v[38:39], v[10:11]
	v_cndmask_b32_e32 v54, v10, v38, vcc_lo
	v_cndmask_b32_e64 v55, v11, 0, vcc_lo
	v_add_nc_u32_e32 v10, 15, v54
	s_delay_alu instid0(VALU_DEP_2) | instskip(NEXT) | instid1(VALU_DEP_2)
	v_cmp_eq_u64_e32 vcc_lo, 0, v[54:55]
	v_and_b32_e32 v10, 0x3ffffff0, v10
	s_or_b32 s21, s1, vcc_lo
	s_delay_alu instid0(SALU_CYCLE_1) | instskip(NEXT) | instid1(VALU_DEP_1)
	s_xor_b32 s7, s21, -1
	v_max_i32_e32 v55, s19, v10
	s_and_saveexec_b32 s22, s7
	s_cbranch_execz .LBB4_1189
; %bb.658:                              ;   in Loop: Header=BB4_657 Depth=1
	s_and_saveexec_b32 s10, s0
	s_cbranch_execz .LBB4_661
; %bb.659:                              ;   in Loop: Header=BB4_657 Depth=1
	s_cbranch_execnz .LBB4_1531
; %bb.660:                              ;   in Loop: Header=BB4_657 Depth=1
	ds_load_2addr_b64 v[10:13], v0 offset1:1
	ds_load_b64 v[14:15], v0
	v_add_co_u32 v16, vcc_lo, v52, v50
	v_add_co_ci_u32_e32 v17, vcc_lo, v53, v51, vcc_lo
	s_delay_alu instid0(VALU_DEP_1) | instskip(SKIP_1) | instid1(VALU_DEP_1)
	v_lshlrev_b64 v[16:17], 1, v[16:17]
	s_waitcnt lgkmcnt(1)
	v_add_co_u32 v10, vcc_lo, v10, v16
	s_delay_alu instid0(VALU_DEP_2)
	v_add_co_ci_u32_e32 v11, vcc_lo, v11, v17, vcc_lo
	s_waitcnt lgkmcnt(0)
	v_add_co_u32 v18, vcc_lo, v14, v16
	v_add_co_ci_u32_e32 v19, vcc_lo, v15, v17, vcc_lo
	v_cmp_ne_u64_e32 vcc_lo, 0, v[14:15]
	v_add_co_u32 v12, s7, v12, v16
	s_delay_alu instid0(VALU_DEP_1) | instskip(NEXT) | instid1(VALU_DEP_4)
	v_add_co_ci_u32_e64 v13, s7, v13, v17, s7
	v_dual_cndmask_b32 v15, 0, v19 :: v_dual_cndmask_b32 v14, 0, v18
	ds_store_b64 v0, v[10:11]
	ds_store_b64 v0, v[12:13]
	;; [unrolled: 1-line block ×3, first 2 shown]
.LBB4_661:                              ;   in Loop: Header=BB4_657 Depth=1
	s_or_b32 exec_lo, exec_lo, s10
	v_and_b32_e32 v10, 4, v30
	s_mov_b32 s10, -1
	s_mov_b32 s7, exec_lo
	s_delay_alu instid0(VALU_DEP_1)
	v_cmpx_ne_u32_e32 0, v10
	s_cbranch_execz .LBB4_675
; %bb.662:                              ;   in Loop: Header=BB4_657 Depth=1
	s_waitcnt lgkmcnt(0)
	v_add_co_u32 v10, vcc_lo, v8, 1
	v_add_co_ci_u32_e32 v11, vcc_lo, 0, v9, vcc_lo
	v_mov_b32_e32 v12, 1
	s_mov_b32 s10, exec_lo
	s_delay_alu instid0(VALU_DEP_2)
	v_cmpx_lt_u64_e64 v[34:35], v[10:11]
	s_cbranch_execz .LBB4_674
; %bb.663:                              ;   in Loop: Header=BB4_657 Depth=1
	v_mov_b32_e32 v12, 0
	s_mov_b32 s11, 0
                                        ; implicit-def: $sgpr12
	s_branch .LBB4_667
.LBB4_664:                              ;   in Loop: Header=BB4_667 Depth=2
	s_or_b32 exec_lo, exec_lo, s26
	v_mov_b32_e32 v13, 0
	s_or_not1_b32 s25, s25, exec_lo
.LBB4_665:                              ;   in Loop: Header=BB4_667 Depth=2
	s_or_b32 exec_lo, exec_lo, s24
	s_delay_alu instid0(VALU_DEP_1) | instskip(SKIP_2) | instid1(SALU_CYCLE_1)
	v_mov_b32_e32 v12, v13
	s_and_not1_b32 s12, s12, exec_lo
	s_and_b32 s24, s25, exec_lo
	s_or_b32 s12, s12, s24
.LBB4_666:                              ;   in Loop: Header=BB4_667 Depth=2
	s_or_b32 exec_lo, exec_lo, s23
	s_waitcnt vmcnt(0) lgkmcnt(0)
	v_cmp_ge_u64_e32 vcc_lo, v[34:35], v[10:11]
	s_xor_b32 s23, s12, -1
	s_delay_alu instid0(SALU_CYCLE_1) | instskip(NEXT) | instid1(SALU_CYCLE_1)
	s_or_b32 s23, s23, vcc_lo
	s_and_b32 s23, exec_lo, s23
	s_delay_alu instid0(SALU_CYCLE_1) | instskip(NEXT) | instid1(SALU_CYCLE_1)
	s_or_b32 s11, s23, s11
	s_and_not1_b32 exec_lo, exec_lo, s11
	s_cbranch_execz .LBB4_673
.LBB4_667:                              ;   Parent Loop BB4_657 Depth=1
                                        ; =>  This Inner Loop Header: Depth=2
	s_sleep 1
	flat_load_b64 v[34:35], v[28:29] glc
	v_and_b32_e32 v13, 64, v30
	s_and_not1_b32 s12, s12, exec_lo
	s_mov_b32 s23, exec_lo
	s_delay_alu instid0(VALU_DEP_1)
	v_cmpx_eq_u32_e32 0, v13
	s_cbranch_execz .LBB4_666
; %bb.668:                              ;   in Loop: Header=BB4_667 Depth=2
	v_add_nc_u32_e32 v13, 1, v12
	s_mov_b32 s25, -1
	s_mov_b32 s24, exec_lo
	v_cmpx_lt_i32_e32 0x270e, v12
	s_cbranch_execz .LBB4_665
; %bb.669:                              ;   in Loop: Header=BB4_667 Depth=2
	s_cbranch_execnz .LBB4_1554
; %bb.670:                              ;   in Loop: Header=BB4_667 Depth=2
	ds_load_b64 v[12:13], v0
	s_mov_b32 s26, exec_lo
	s_waitcnt vmcnt(0) lgkmcnt(0)
	s_waitcnt_vscnt null, 0x0
	flat_load_b32 v12, v[12:13] glc
	s_waitcnt vmcnt(0) lgkmcnt(0)
	buffer_gl1_inv
	buffer_gl0_inv
	v_cmpx_ne_u32_e32 0, v12
	s_cbranch_execz .LBB4_664
; %bb.671:                              ;   in Loop: Header=BB4_667 Depth=2
	ds_store_b32 v0, v12
	s_cbranch_execnz .LBB4_1582
; %bb.672:                              ;   in Loop: Header=BB4_667 Depth=2
	v_or_b32_e32 v30, 64, v30
	s_xor_b32 s25, exec_lo, -1
	s_branch .LBB4_664
.LBB4_673:                              ;   in Loop: Header=BB4_657 Depth=1
	s_or_b32 exec_lo, exec_lo, s11
	v_and_b32_e32 v12, 4, v30
.LBB4_674:                              ;   in Loop: Header=BB4_657 Depth=1
	s_or_b32 exec_lo, exec_lo, s10
	s_delay_alu instid0(VALU_DEP_1)
	v_cmp_eq_u32_e32 vcc_lo, 0, v12
	;;#ASMSTART
	s_wakeup
	;;#ASMEND
	s_or_not1_b32 s10, vcc_lo, exec_lo
.LBB4_675:                              ;   in Loop: Header=BB4_657 Depth=1
	s_or_b32 exec_lo, exec_lo, s7
	s_xor_b32 s7, s10, -1
	s_delay_alu instid0(SALU_CYCLE_1)
	s_and_saveexec_b32 s10, s7
	s_cbranch_execz .LBB4_685
; %bb.676:                              ;   in Loop: Header=BB4_657 Depth=1
	v_and_b32_e32 v10, 0x100, v30
	s_waitcnt lgkmcnt(0)
	v_and_b32_e32 v14, 7, v8
	s_mov_b32 s7, -1
	s_delay_alu instid0(VALU_DEP_2)
	v_cmp_ne_u32_e32 vcc_lo, 0, v10
                                        ; implicit-def: $vgpr10_vgpr11
	s_and_saveexec_b32 s11, vcc_lo
	s_cbranch_execz .LBB4_680
; %bb.677:                              ;   in Loop: Header=BB4_657 Depth=1
	v_mad_u64_u32 v[12:13], null, v14, 24, v[6:7]
	flat_load_b32 v10, v[12:13]
	s_waitcnt vmcnt(0) lgkmcnt(0)
	v_cmp_ne_u32_e32 vcc_lo, 1, v10
	v_cmp_eq_u32_e64 s7, 1, v10
                                        ; implicit-def: $vgpr10_vgpr11
	s_delay_alu instid0(VALU_DEP_1)
	s_and_saveexec_b32 s12, s7
	s_cbranch_execz .LBB4_679
; %bb.678:                              ;   in Loop: Header=BB4_657 Depth=1
	flat_load_b32 v10, v[12:13] offset:4 glc
	s_waitcnt vmcnt(0) lgkmcnt(0)
	v_ashrrev_i32_e32 v11, 31, v10
	s_delay_alu instid0(VALU_DEP_1)
	v_lshrrev_b64 v[10:11], 1, v[10:11]
.LBB4_679:                              ;   in Loop: Header=BB4_657 Depth=1
	s_or_b32 exec_lo, exec_lo, s12
	s_delay_alu instid0(SALU_CYCLE_1)
	s_or_not1_b32 s7, vcc_lo, exec_lo
.LBB4_680:                              ;   in Loop: Header=BB4_657 Depth=1
	s_or_b32 exec_lo, exec_lo, s11
	s_and_saveexec_b32 s11, s7
; %bb.681:                              ;   in Loop: Header=BB4_657 Depth=1
	v_mad_i64_i32 v[10:11], null, v14, v81, 0
; %bb.682:                              ;   in Loop: Header=BB4_657 Depth=1
	s_or_b32 exec_lo, exec_lo, s11
	s_delay_alu instid0(VALU_DEP_1) | instskip(SKIP_2) | instid1(VALU_DEP_2)
	v_lshlrev_b64 v[10:11], 1, v[10:11]
	v_and_b32_e32 v12, 0x2000, v30
	s_mov_b32 s7, exec_lo
	v_add_co_u32 v10, vcc_lo, v32, v10
	s_delay_alu instid0(VALU_DEP_3)
	v_add_co_ci_u32_e32 v11, vcc_lo, v33, v11, vcc_lo
	ds_store_b64 v0, v[10:11] offset:728
	v_cmpx_ne_u32_e32 0, v12
	s_cbranch_execz .LBB4_684
; %bb.683:                              ;   in Loop: Header=BB4_657 Depth=1
	ds_load_b64 v[10:11], v0 offset:584
	s_waitcnt lgkmcnt(0)
	v_add_co_u32 v10, vcc_lo, v10, 1
	v_add_co_ci_u32_e32 v11, vcc_lo, 0, v11, vcc_lo
	ds_store_b64 v0, v[10:11] offset:584
.LBB4_684:                              ;   in Loop: Header=BB4_657 Depth=1
	s_or_b32 exec_lo, exec_lo, s7
	v_add_co_u32 v8, vcc_lo, v8, 1
	v_add_co_ci_u32_e32 v9, vcc_lo, 0, v9, vcc_lo
.LBB4_685:                              ;   in Loop: Header=BB4_657 Depth=1
	s_or_b32 exec_lo, exec_lo, s10
	s_and_saveexec_b32 s7, s2
	s_cbranch_execz .LBB4_707
; %bb.686:                              ;   in Loop: Header=BB4_657 Depth=1
	s_and_saveexec_b32 s10, s3
	s_delay_alu instid0(SALU_CYCLE_1)
	s_xor_b32 s10, exec_lo, s10
	s_cbranch_execz .LBB4_704
; %bb.687:                              ;   in Loop: Header=BB4_657 Depth=1
	s_and_saveexec_b32 s11, s4
	s_cbranch_execz .LBB4_703
; %bb.688:                              ;   in Loop: Header=BB4_657 Depth=1
	s_mov_b32 s23, exec_lo
	s_mov_b32 s12, exec_lo
	v_mbcnt_lo_u32_b32 v10, s23, 0
	s_waitcnt lgkmcnt(0)
	s_waitcnt_vscnt null, 0x0
	buffer_gl1_inv
	buffer_gl0_inv
	v_cmpx_eq_u32_e32 0, v10
	s_cbranch_execz .LBB4_690
; %bb.689:                              ;   in Loop: Header=BB4_657 Depth=1
	s_bcnt1_i32_b32 s23, s23
	s_delay_alu instid0(SALU_CYCLE_1)
	v_mov_b32_e32 v48, s23
	ds_add_u64 v0, v[48:49]
	s_cbranch_execnz .LBB4_1604
.LBB4_690:                              ;   in Loop: Header=BB4_657 Depth=1
	s_or_b32 exec_lo, exec_lo, s12
	s_cbranch_execnz .LBB4_1592
; %bb.691:                              ;   in Loop: Header=BB4_657 Depth=1
	ds_load_b64 v[10:11], v0
	v_add_co_u32 v36, vcc_lo, v36, v70
	v_add_co_ci_u32_e32 v37, vcc_lo, 0, v37, vcc_lo
	s_mov_b32 s12, exec_lo
	s_waitcnt lgkmcnt(0)
	s_delay_alu instid0(VALU_DEP_1)
	v_cmpx_lt_u64_e64 v[10:11], v[36:37]
	s_cbranch_execz .LBB4_702
; %bb.692:                              ;   in Loop: Header=BB4_657 Depth=1
	s_mov_b32 s23, 0
	s_mov_b32 s26, 0
                                        ; implicit-def: $sgpr24
                                        ; implicit-def: $sgpr25
	s_branch .LBB4_694
.LBB4_693:                              ;   in Loop: Header=BB4_694 Depth=2
	s_or_b32 exec_lo, exec_lo, s29
	s_delay_alu instid0(SALU_CYCLE_1) | instskip(NEXT) | instid1(SALU_CYCLE_1)
	s_and_b32 s27, exec_lo, s28
	s_or_b32 s23, s27, s23
	s_and_not1_b32 s24, s24, exec_lo
	s_and_b32 s27, s25, exec_lo
	s_delay_alu instid0(SALU_CYCLE_1)
	s_or_b32 s24, s24, s27
	s_and_not1_b32 exec_lo, exec_lo, s23
	s_cbranch_execz .LBB4_700
.LBB4_694:                              ;   Parent Loop BB4_657 Depth=1
                                        ; =>  This Inner Loop Header: Depth=2
	s_add_i32 s26, s26, 1
                                        ; implicit-def: $sgpr28
	s_delay_alu instid0(SALU_CYCLE_1) | instskip(SKIP_1) | instid1(SALU_CYCLE_1)
	s_cmpk_lg_i32 s26, 0x2710
	s_cselect_b32 s27, -1, 0
	s_and_b32 vcc_lo, exec_lo, s27
	s_cbranch_vccz .LBB4_698
.LBB4_695:                              ;   in Loop: Header=BB4_694 Depth=2
	s_and_not1_b32 s25, s25, exec_lo
	s_and_b32 s29, s28, exec_lo
	s_mov_b32 s28, -1
	s_or_b32 s25, s25, s29
	s_and_saveexec_b32 s29, s27
	s_cbranch_execz .LBB4_693
; %bb.696:                              ;   in Loop: Header=BB4_694 Depth=2
	s_sleep 1
	s_cbranch_execnz .LBB4_1636
; %bb.697:                              ;   in Loop: Header=BB4_694 Depth=2
	ds_load_b64 v[10:11], v0
	s_and_not1_b32 s25, s25, exec_lo
	s_waitcnt lgkmcnt(0)
	v_cmp_ge_u64_e32 vcc_lo, v[10:11], v[36:37]
	s_or_not1_b32 s28, vcc_lo, exec_lo
	s_branch .LBB4_693
.LBB4_698:                              ;   in Loop: Header=BB4_694 Depth=2
	s_cbranch_execnz .LBB4_1644
; %bb.699:                              ;   in Loop: Header=BB4_694 Depth=2
	ds_load_b64 v[10:11], v0
	s_and_not1_b32 s27, s27, exec_lo
	s_mov_b32 s26, 0
	s_mov_b32 s28, -1
	s_waitcnt lgkmcnt(0)
	flat_load_b32 v10, v[10:11] glc
	s_waitcnt vmcnt(0) lgkmcnt(0)
	buffer_gl1_inv
	buffer_gl0_inv
	v_cmp_eq_u32_e32 vcc_lo, 0, v10
	s_and_b32 s29, vcc_lo, exec_lo
	s_delay_alu instid0(SALU_CYCLE_1)
	s_or_b32 s27, s27, s29
	s_branch .LBB4_695
.LBB4_700:                              ;   in Loop: Header=BB4_657 Depth=1
	s_or_b32 exec_lo, exec_lo, s23
	s_and_saveexec_b32 s23, s24
	s_delay_alu instid0(SALU_CYCLE_1)
	s_xor_b32 s23, exec_lo, s23
	s_cbranch_execz .LBB4_702
; %bb.701:                              ;   in Loop: Header=BB4_657 Depth=1
	ds_store_b32 v0, v101
	s_cbranch_execnz .LBB4_1722
.LBB4_702:                              ;   in Loop: Header=BB4_657 Depth=1
	s_or_b32 exec_lo, exec_lo, s12
	;;#ASMSTART
	s_wakeup
	;;#ASMEND
.LBB4_703:                              ;   in Loop: Header=BB4_657 Depth=1
	s_or_b32 exec_lo, exec_lo, s11
.LBB4_704:                              ;   in Loop: Header=BB4_657 Depth=1
	s_and_not1_saveexec_b32 s10, s10
	s_cbranch_execz .LBB4_706
; %bb.705:                              ;   in Loop: Header=BB4_657 Depth=1
	s_waitcnt lgkmcnt(0)
	s_waitcnt_vscnt null, 0x0
	buffer_gl1_inv
	buffer_gl0_inv
	s_barrier
.LBB4_706:                              ;   in Loop: Header=BB4_657 Depth=1
	s_or_b32 exec_lo, exec_lo, s10
.LBB4_707:                              ;   in Loop: Header=BB4_657 Depth=1
	s_delay_alu instid0(SALU_CYCLE_1)
	s_or_b32 exec_lo, exec_lo, s7
	s_cbranch_execnz .LBB4_1525
; %bb.708:                              ;   in Loop: Header=BB4_657 Depth=1
	ds_load_b32 v10, v0
	v_and_b32_e32 v11, 0x4000, v30
	s_delay_alu instid0(VALU_DEP_1) | instskip(SKIP_1) | instid1(SALU_CYCLE_1)
	v_cmp_ne_u32_e32 vcc_lo, 0, v11
	s_and_b32 s10, s20, vcc_lo
	s_and_saveexec_b32 s7, s10
	s_cbranch_execz .LBB4_730
; %bb.709:                              ;   in Loop: Header=BB4_657 Depth=1
	s_and_saveexec_b32 s10, s3
	s_delay_alu instid0(SALU_CYCLE_1)
	s_xor_b32 s10, exec_lo, s10
	s_cbranch_execz .LBB4_727
; %bb.710:                              ;   in Loop: Header=BB4_657 Depth=1
	s_and_saveexec_b32 s11, s4
	s_cbranch_execz .LBB4_726
; %bb.711:                              ;   in Loop: Header=BB4_657 Depth=1
	s_mov_b32 s23, exec_lo
	s_mov_b32 s12, exec_lo
	v_mbcnt_lo_u32_b32 v11, s23, 0
	s_waitcnt lgkmcnt(0)
	s_waitcnt_vscnt null, 0x0
	buffer_gl1_inv
	buffer_gl0_inv
	v_cmpx_eq_u32_e32 0, v11
	s_cbranch_execz .LBB4_713
; %bb.712:                              ;   in Loop: Header=BB4_657 Depth=1
	s_bcnt1_i32_b32 s23, s23
	s_delay_alu instid0(SALU_CYCLE_1)
	v_mov_b32_e32 v48, s23
	ds_add_u64 v0, v[48:49]
	s_cbranch_execnz .LBB4_1632
.LBB4_713:                              ;   in Loop: Header=BB4_657 Depth=1
	s_or_b32 exec_lo, exec_lo, s12
	s_cbranch_execnz .LBB4_1616
; %bb.714:                              ;   in Loop: Header=BB4_657 Depth=1
	ds_load_b64 v[11:12], v0
	v_add_co_u32 v36, vcc_lo, v36, v70
	v_add_co_ci_u32_e32 v37, vcc_lo, 0, v37, vcc_lo
	s_mov_b32 s12, exec_lo
	s_waitcnt lgkmcnt(0)
	s_delay_alu instid0(VALU_DEP_1)
	v_cmpx_lt_u64_e64 v[11:12], v[36:37]
	s_cbranch_execz .LBB4_725
; %bb.715:                              ;   in Loop: Header=BB4_657 Depth=1
	s_mov_b32 s23, 0
	s_mov_b32 s26, 0
                                        ; implicit-def: $sgpr24
                                        ; implicit-def: $sgpr25
	s_branch .LBB4_717
.LBB4_716:                              ;   in Loop: Header=BB4_717 Depth=2
	s_or_b32 exec_lo, exec_lo, s29
	s_delay_alu instid0(SALU_CYCLE_1) | instskip(NEXT) | instid1(SALU_CYCLE_1)
	s_and_b32 s27, exec_lo, s28
	s_or_b32 s23, s27, s23
	s_and_not1_b32 s24, s24, exec_lo
	s_and_b32 s27, s25, exec_lo
	s_delay_alu instid0(SALU_CYCLE_1)
	s_or_b32 s24, s24, s27
	s_and_not1_b32 exec_lo, exec_lo, s23
	s_cbranch_execz .LBB4_723
.LBB4_717:                              ;   Parent Loop BB4_657 Depth=1
                                        ; =>  This Inner Loop Header: Depth=2
	s_add_i32 s26, s26, 1
                                        ; implicit-def: $sgpr28
	s_delay_alu instid0(SALU_CYCLE_1) | instskip(SKIP_1) | instid1(SALU_CYCLE_1)
	s_cmpk_lg_i32 s26, 0x2710
	s_cselect_b32 s27, -1, 0
	s_and_b32 vcc_lo, exec_lo, s27
	s_cbranch_vccz .LBB4_721
.LBB4_718:                              ;   in Loop: Header=BB4_717 Depth=2
	s_and_not1_b32 s25, s25, exec_lo
	s_and_b32 s29, s28, exec_lo
	s_mov_b32 s28, -1
	s_or_b32 s25, s25, s29
	s_and_saveexec_b32 s29, s27
	s_cbranch_execz .LBB4_716
; %bb.719:                              ;   in Loop: Header=BB4_717 Depth=2
	s_sleep 1
	s_cbranch_execnz .LBB4_1676
; %bb.720:                              ;   in Loop: Header=BB4_717 Depth=2
	ds_load_b64 v[11:12], v0
	s_and_not1_b32 s25, s25, exec_lo
	s_waitcnt lgkmcnt(0)
	v_cmp_ge_u64_e32 vcc_lo, v[11:12], v[36:37]
	s_or_not1_b32 s28, vcc_lo, exec_lo
	s_branch .LBB4_716
.LBB4_721:                              ;   in Loop: Header=BB4_717 Depth=2
	s_cbranch_execnz .LBB4_1690
; %bb.722:                              ;   in Loop: Header=BB4_717 Depth=2
	ds_load_b64 v[11:12], v0
	s_and_not1_b32 s27, s27, exec_lo
	s_mov_b32 s26, 0
	s_mov_b32 s28, -1
	s_waitcnt lgkmcnt(0)
	flat_load_b32 v11, v[11:12] glc
	s_waitcnt vmcnt(0) lgkmcnt(0)
	buffer_gl1_inv
	buffer_gl0_inv
	v_cmp_eq_u32_e32 vcc_lo, 0, v11
	s_and_b32 s29, vcc_lo, exec_lo
	s_delay_alu instid0(SALU_CYCLE_1)
	s_or_b32 s27, s27, s29
	s_branch .LBB4_718
.LBB4_723:                              ;   in Loop: Header=BB4_657 Depth=1
	s_or_b32 exec_lo, exec_lo, s23
	s_and_saveexec_b32 s23, s24
	s_delay_alu instid0(SALU_CYCLE_1)
	s_xor_b32 s23, exec_lo, s23
	s_cbranch_execz .LBB4_725
; %bb.724:                              ;   in Loop: Header=BB4_657 Depth=1
	ds_store_b32 v0, v101
	s_cbranch_execnz .LBB4_1732
.LBB4_725:                              ;   in Loop: Header=BB4_657 Depth=1
	s_or_b32 exec_lo, exec_lo, s12
	;;#ASMSTART
	s_wakeup
	;;#ASMEND
.LBB4_726:                              ;   in Loop: Header=BB4_657 Depth=1
	s_or_b32 exec_lo, exec_lo, s11
.LBB4_727:                              ;   in Loop: Header=BB4_657 Depth=1
	s_and_not1_saveexec_b32 s10, s10
	s_cbranch_execz .LBB4_729
; %bb.728:                              ;   in Loop: Header=BB4_657 Depth=1
	s_waitcnt lgkmcnt(0)
	s_waitcnt_vscnt null, 0x0
	buffer_gl1_inv
	buffer_gl0_inv
	s_barrier
.LBB4_729:                              ;   in Loop: Header=BB4_657 Depth=1
	s_or_b32 exec_lo, exec_lo, s10
.LBB4_730:                              ;   in Loop: Header=BB4_657 Depth=1
	s_delay_alu instid0(SALU_CYCLE_1)
	s_or_b32 exec_lo, exec_lo, s7
	s_cbranch_execnz .LBB4_1558
; %bb.731:                              ;   in Loop: Header=BB4_657 Depth=1
	ds_load_b64 v[11:12], v0
	v_min_u32_e32 v55, v55, v54
	s_waitcnt lgkmcnt(0)
	v_cmp_eq_u64_e32 vcc_lo, 0, v[11:12]
	s_or_b32 s7, vcc_lo, vcc_lo
	s_delay_alu instid0(SALU_CYCLE_1)
	s_and_b32 vcc_lo, exec_lo, s7
	s_mov_b32 s7, 0
	s_cbranch_vccnz .LBB4_1162
; %bb.732:                              ;   in Loop: Header=BB4_657 Depth=1
	s_cbranch_execnz .LBB4_1584
; %bb.733:                              ;   in Loop: Header=BB4_657 Depth=1
	ds_load_b64 v[11:12], v0
	s_mov_b32 s7, -1
	s_waitcnt lgkmcnt(0)
	v_readfirstlane_b32 s23, v11
	s_and_saveexec_b32 s10, s5
	s_cbranch_execz .LBB4_735
; %bb.734:                              ;   in Loop: Header=BB4_657 Depth=1
	ds_load_b32 v11, v0 offset:720
	s_waitcnt lgkmcnt(0)
	v_and_b32_e32 v11, 15, v11
	s_delay_alu instid0(VALU_DEP_1)
	v_cmp_eq_u32_e32 vcc_lo, 0, v11
	s_or_not1_b32 s7, vcc_lo, exec_lo
.LBB4_735:                              ;   in Loop: Header=BB4_657 Depth=1
	s_or_b32 exec_lo, exec_lo, s10
	s_and_saveexec_b32 s10, s6
	s_cbranch_execz .LBB4_737
; %bb.736:                              ;   in Loop: Header=BB4_657 Depth=1
	ds_load_b32 v11, v0 offset:784
	s_waitcnt lgkmcnt(0)
	v_and_b32_e32 v11, 15, v11
	s_delay_alu instid0(VALU_DEP_1) | instskip(SKIP_3) | instid1(SALU_CYCLE_1)
	v_cmp_eq_u32_e32 vcc_lo, 0, v11
	s_and_b32 s11, s7, vcc_lo
	s_and_not1_b32 s7, s7, exec_lo
	s_and_b32 s11, s11, exec_lo
	s_or_b32 s7, s7, s11
.LBB4_737:                              ;   in Loop: Header=BB4_657 Depth=1
	s_or_b32 exec_lo, exec_lo, s10
	v_cmp_eq_u32_e32 vcc_lo, 0, v10
	s_xor_b32 s7, s7, -1
	v_mov_b32_e32 v16, 0
	v_cndmask_b32_e64 v11, 0, 1, s7
	;;#ASMSTART
	;;#ASMEND
	v_cndmask_b32_e32 v48, 0, v55, vcc_lo
	s_delay_alu instid0(VALU_DEP_2) | instskip(SKIP_1) | instid1(VALU_DEP_2)
	v_cmp_ne_u32_e32 vcc_lo, 0, v11
	s_mov_b32 s7, -1
	v_lshlrev_b32_e32 v102, 1, v48
	s_cbranch_vccz .LBB4_739
; %bb.738:                              ;   in Loop: Header=BB4_657 Depth=1
	v_dual_mov_b32 v17, v0 :: v_dual_mov_b32 v10, v71
	s_branch .LBB4_1042
.LBB4_739:                              ;   in Loop: Header=BB4_657 Depth=1
	v_lshrrev_b32_e32 v112, 9, v48
	s_mov_b32 s12, exec_lo
	s_delay_alu instid0(VALU_DEP_1) | instskip(NEXT) | instid1(VALU_DEP_1)
	v_sub_nc_u32_e32 v103, v112, v71
	v_cmpx_lt_i32_e32 0, v103
	s_cbranch_execz .LBB4_936
; %bb.740:                              ;   in Loop: Header=BB4_657 Depth=1
	s_cbranch_execnz .LBB4_1684
; %bb.741:                              ;   in Loop: Header=BB4_657 Depth=1
	ds_load_b128 v[10:13], v0
	ds_load_b64 v[14:15], v0
	s_bitcmp1_b32 s23, 0
	s_mov_b32 s24, 0
	s_cselect_b32 s25, -1, 0
	s_waitcnt lgkmcnt(1)
	v_add_co_u32 v64, vcc_lo, v10, v85
	v_add_co_ci_u32_e32 v65, vcc_lo, v11, v96, vcc_lo
	v_add_co_u32 v66, vcc_lo, v12, v85
	v_add_co_ci_u32_e32 v67, vcc_lo, v13, v96, vcc_lo
	s_waitcnt lgkmcnt(0)
	v_add_co_u32 v68, vcc_lo, v14, v85
	v_add_co_ci_u32_e32 v69, vcc_lo, v15, v96, vcc_lo
	s_branch .LBB4_745
.LBB4_742:                              ;   in Loop: Header=BB4_745 Depth=2
	s_or_b32 exec_lo, exec_lo, s26
	s_delay_alu instid0(VALU_DEP_1)
	v_mov_b32_e32 v116, v114
.LBB4_743:                              ;   in Loop: Header=BB4_745 Depth=2
	s_or_b32 exec_lo, exec_lo, s11
	s_delay_alu instid0(VALU_DEP_1)
	v_mov_b32_e32 v16, v116
.LBB4_744:                              ;   in Loop: Header=BB4_745 Depth=2
	v_lshlrev_b32_e32 v13, 16, v18
	v_and_b32_e32 v18, 0xffff, v113
	v_lshlrev_b32_e32 v21, 16, v21
	v_and_b32_e32 v20, 0xffff, v20
	;; [unrolled: 2-line block ×3, first 2 shown]
	v_or_b32_e32 v13, v13, v18
	v_lshlrev_b32_e32 v10, 16, v10
	v_or3_b32 v21, v21, v20, 0
	v_and_b32_e32 v20, 0xffff, v25
	v_lshlrev_b32_e32 v12, 16, v12
	v_and_b32_e32 v15, 0xffff, v15
	v_lshlrev_b32_e32 v22, 16, v22
	v_and_b32_e32 v19, 0xffff, v19
	v_or3_b32 v18, 0, 0, v13
	v_or_b32_e32 v13, v24, v23
	v_lshlrev_b32_e32 v14, 16, v14
	v_and_b32_e32 v11, 0xffff, v11
	v_or_b32_e32 v10, v10, v20
	v_lshlrev_b32_e32 v16, 16, v16
	v_and_b32_e32 v17, 0xffff, v17
	v_or_b32_e32 v12, v12, v15
	v_add_co_u32 v64, vcc_lo, v64, v86
	v_or3_b32 v19, v22, v19, 0
	v_or3_b32 v20, 0, 0, v13
	v_sub_nc_u32_e32 v103, v103, v70
	v_or3_b32 v11, v14, v11, 0
	v_or3_b32 v10, 0, 0, v10
	;; [unrolled: 1-line block ×4, first 2 shown]
	v_add_co_ci_u32_e32 v65, vcc_lo, v65, v87, vcc_lo
	v_add_co_u32 v66, vcc_lo, v66, v86
	v_add_co_ci_u32_e32 v67, vcc_lo, v67, v87, vcc_lo
	s_clause 0x1
	global_store_b128 v[68:69], v[18:21], off glc slc dlc
	global_store_b128 v[68:69], v[10:13], off offset:512 glc slc dlc
	v_cmp_gt_i32_e32 vcc_lo, 1, v103
	v_add_co_u32 v68, s7, v68, v86
	s_delay_alu instid0(VALU_DEP_1) | instskip(SKIP_1) | instid1(SALU_CYCLE_1)
	v_add_co_ci_u32_e64 v69, s7, v69, v87, s7
	s_or_b32 s24, vcc_lo, s24
	s_and_not1_b32 exec_lo, exec_lo, s24
	s_cbranch_execz .LBB4_935
.LBB4_745:                              ;   Parent Loop BB4_657 Depth=1
                                        ; =>  This Inner Loop Header: Depth=2
	global_load_b128 v[22:25], v[64:65], off slc dlc
	global_load_b128 v[18:21], v[66:67], off slc dlc
	global_load_b128 v[14:17], v[64:65], off offset:512 slc dlc
	global_load_b128 v[10:13], v[66:67], off offset:512 slc dlc
	s_mov_b32 s11, -1
	s_and_b32 vcc_lo, exec_lo, s25
	s_waitcnt vmcnt(3)
	v_and_b32_e32 v113, 0x7fff, v22
	s_waitcnt vmcnt(2)
	v_and_b32_e32 v114, 0x7fff, v18
	v_perm_b32 v115, v18, v22, 0x5040100
	s_delay_alu instid0(VALU_DEP_3) | instskip(NEXT) | instid1(VALU_DEP_3)
	v_cmp_lt_u16_e64 s7, 0x7c00, v113
	v_cmp_gt_u16_e64 s10, 0x7c01, v114
                                        ; implicit-def: $vgpr113
	s_delay_alu instid0(VALU_DEP_1) | instskip(NEXT) | instid1(SALU_CYCLE_1)
	s_and_b32 s26, s7, s10
	s_xor_b32 s26, s26, -1
	s_cbranch_vccz .LBB4_751
; %bb.746:                              ;   in Loop: Header=BB4_745 Depth=2
	v_mov_b32_e32 v113, v18
	s_and_saveexec_b32 s27, s26
	s_cbranch_execz .LBB4_750
; %bb.747:                              ;   in Loop: Header=BB4_745 Depth=2
	v_mov_b32_e32 v113, v22
	s_or_b32 s11, s7, s10
	s_delay_alu instid0(SALU_CYCLE_1)
	s_and_saveexec_b32 s28, s11
; %bb.748:                              ;   in Loop: Header=BB4_745 Depth=2
	v_lshrrev_b32_e32 v113, 16, v115
	v_cmp_lt_u16_e32 vcc_lo, 0x7c00, v114
	s_delay_alu instid0(VALU_DEP_2) | instskip(NEXT) | instid1(VALU_DEP_1)
	v_cmp_gt_f16_e64 s11, v115, v113
	v_cndmask_b32_e64 v113, v113, v115, s11
	s_and_b32 s11, s7, vcc_lo
	s_delay_alu instid0(VALU_DEP_1) | instid1(SALU_CYCLE_1)
	v_cndmask_b32_e64 v113, v113, 0x7fff, s11
; %bb.749:                              ;   in Loop: Header=BB4_745 Depth=2
	s_or_b32 exec_lo, exec_lo, s28
.LBB4_750:                              ;   in Loop: Header=BB4_745 Depth=2
	s_delay_alu instid0(SALU_CYCLE_1)
	s_or_b32 exec_lo, exec_lo, s27
	s_mov_b32 s11, 0
.LBB4_751:                              ;   in Loop: Header=BB4_745 Depth=2
	s_delay_alu instid0(SALU_CYCLE_1)
	s_and_not1_b32 vcc_lo, exec_lo, s11
	s_cbranch_vccnz .LBB4_757
; %bb.752:                              ;   in Loop: Header=BB4_745 Depth=2
	v_mov_b32_e32 v113, v18
	s_and_saveexec_b32 s11, s26
	s_cbranch_execz .LBB4_756
; %bb.753:                              ;   in Loop: Header=BB4_745 Depth=2
	v_mov_b32_e32 v113, v22
	s_or_b32 s10, s7, s10
	s_delay_alu instid0(SALU_CYCLE_1)
	s_and_saveexec_b32 s26, s10
; %bb.754:                              ;   in Loop: Header=BB4_745 Depth=2
	v_lshrrev_b32_e32 v113, 16, v115
	v_cmp_lt_u16_e32 vcc_lo, 0x7c00, v114
	s_delay_alu instid0(VALU_DEP_2) | instskip(SKIP_1) | instid1(VALU_DEP_1)
	v_cmp_gt_f16_e64 s10, v115, v113
	s_and_b32 s7, s7, vcc_lo
	v_cndmask_b32_e64 v113, v115, v113, s10
	s_delay_alu instid0(VALU_DEP_1)
	v_cndmask_b32_e64 v113, v113, 0x7fff, s7
; %bb.755:                              ;   in Loop: Header=BB4_745 Depth=2
	s_or_b32 exec_lo, exec_lo, s26
.LBB4_756:                              ;   in Loop: Header=BB4_745 Depth=2
	s_delay_alu instid0(SALU_CYCLE_1)
	s_or_b32 exec_lo, exec_lo, s11
.LBB4_757:                              ;   in Loop: Header=BB4_745 Depth=2
	v_mov_b32_e32 v117, v22
	v_mov_b32_e32 v118, v18
	;; [unrolled: 1-line block ×4, first 2 shown]
	s_mov_b32 s11, -1
	v_lshrrev_b32_e32 v114, 16, v117
	v_lshrrev_b32_e32 v116, 16, v118
	s_and_b32 vcc_lo, exec_lo, s25
	s_delay_alu instid0(VALU_DEP_2) | instskip(NEXT) | instid1(VALU_DEP_2)
	v_and_b32_e32 v18, 0x7fff, v114
	v_and_b32_e32 v115, 0x7fff, v116
	v_perm_b32 v19, v118, v117, 0x7060302
	s_delay_alu instid0(VALU_DEP_3) | instskip(NEXT) | instid1(VALU_DEP_3)
	v_cmp_lt_u16_e64 s7, 0x7c00, v18
	v_cmp_gt_u16_e64 s10, 0x7c01, v115
                                        ; implicit-def: $vgpr18
	s_delay_alu instid0(VALU_DEP_1) | instskip(NEXT) | instid1(SALU_CYCLE_1)
	s_and_b32 s26, s7, s10
	s_xor_b32 s26, s26, -1
	s_cbranch_vccz .LBB4_763
; %bb.758:                              ;   in Loop: Header=BB4_745 Depth=2
	v_mov_b32_e32 v18, v116
	s_and_saveexec_b32 s27, s26
	s_cbranch_execz .LBB4_762
; %bb.759:                              ;   in Loop: Header=BB4_745 Depth=2
	v_mov_b32_e32 v18, v114
	s_or_b32 s11, s7, s10
	s_delay_alu instid0(SALU_CYCLE_1)
	s_and_saveexec_b32 s28, s11
; %bb.760:                              ;   in Loop: Header=BB4_745 Depth=2
	v_lshrrev_b32_e32 v18, 16, v19
	v_cmp_lt_u16_e32 vcc_lo, 0x7c00, v115
	s_delay_alu instid0(VALU_DEP_2) | instskip(NEXT) | instid1(VALU_DEP_1)
	v_cmp_gt_f16_e64 s11, v19, v18
	v_cndmask_b32_e64 v18, v18, v19, s11
	s_and_b32 s11, s7, vcc_lo
	s_delay_alu instid0(VALU_DEP_1) | instid1(SALU_CYCLE_1)
	v_cndmask_b32_e64 v18, v18, 0x7fff, s11
; %bb.761:                              ;   in Loop: Header=BB4_745 Depth=2
	s_or_b32 exec_lo, exec_lo, s28
.LBB4_762:                              ;   in Loop: Header=BB4_745 Depth=2
	s_delay_alu instid0(SALU_CYCLE_1)
	s_or_b32 exec_lo, exec_lo, s27
	s_mov_b32 s11, 0
.LBB4_763:                              ;   in Loop: Header=BB4_745 Depth=2
	s_delay_alu instid0(SALU_CYCLE_1)
	s_and_not1_b32 vcc_lo, exec_lo, s11
	s_cbranch_vccnz .LBB4_769
; %bb.764:                              ;   in Loop: Header=BB4_745 Depth=2
	s_and_saveexec_b32 s11, s26
	s_cbranch_execz .LBB4_768
; %bb.765:                              ;   in Loop: Header=BB4_745 Depth=2
	s_or_b32 s10, s7, s10
	s_delay_alu instid0(SALU_CYCLE_1)
	s_and_saveexec_b32 s26, s10
; %bb.766:                              ;   in Loop: Header=BB4_745 Depth=2
	v_lshrrev_b32_e32 v18, 16, v19
	v_cmp_lt_u16_e32 vcc_lo, 0x7c00, v115
	s_delay_alu instid0(VALU_DEP_2) | instskip(SKIP_1) | instid1(VALU_DEP_1)
	v_cmp_gt_f16_e64 s10, v19, v18
	s_and_b32 s7, s7, vcc_lo
	v_cndmask_b32_e64 v18, v19, v18, s10
	s_delay_alu instid0(VALU_DEP_1)
	v_cndmask_b32_e64 v114, v18, 0x7fff, s7
; %bb.767:                              ;   in Loop: Header=BB4_745 Depth=2
	s_or_b32 exec_lo, exec_lo, s26
	s_delay_alu instid0(VALU_DEP_1)
	v_mov_b32_e32 v116, v114
.LBB4_768:                              ;   in Loop: Header=BB4_745 Depth=2
	s_or_b32 exec_lo, exec_lo, s11
	s_delay_alu instid0(VALU_DEP_1)
	v_mov_b32_e32 v18, v116
.LBB4_769:                              ;   in Loop: Header=BB4_745 Depth=2
	v_and_b32_e32 v19, 0x7fff, v22
	v_and_b32_e32 v114, 0x7fff, v23
	v_perm_b32 v115, v23, v22, 0x5040100
	s_mov_b32 s11, -1
	s_and_b32 vcc_lo, exec_lo, s25
	v_cmp_lt_u16_e64 s7, 0x7c00, v19
	v_cmp_gt_u16_e64 s10, 0x7c01, v114
                                        ; implicit-def: $vgpr19
	s_delay_alu instid0(VALU_DEP_1) | instskip(NEXT) | instid1(SALU_CYCLE_1)
	s_and_b32 s26, s7, s10
	s_xor_b32 s26, s26, -1
	s_cbranch_vccz .LBB4_775
; %bb.770:                              ;   in Loop: Header=BB4_745 Depth=2
	v_mov_b32_e32 v19, v23
	s_and_saveexec_b32 s27, s26
	s_cbranch_execz .LBB4_774
; %bb.771:                              ;   in Loop: Header=BB4_745 Depth=2
	v_mov_b32_e32 v19, v22
	s_or_b32 s11, s7, s10
	s_delay_alu instid0(SALU_CYCLE_1)
	s_and_saveexec_b32 s28, s11
; %bb.772:                              ;   in Loop: Header=BB4_745 Depth=2
	v_lshrrev_b32_e32 v19, 16, v115
	v_cmp_lt_u16_e32 vcc_lo, 0x7c00, v114
	s_delay_alu instid0(VALU_DEP_2) | instskip(NEXT) | instid1(VALU_DEP_1)
	v_cmp_gt_f16_e64 s11, v115, v19
	v_cndmask_b32_e64 v19, v19, v115, s11
	s_and_b32 s11, s7, vcc_lo
	s_delay_alu instid0(VALU_DEP_1) | instid1(SALU_CYCLE_1)
	v_cndmask_b32_e64 v19, v19, 0x7fff, s11
; %bb.773:                              ;   in Loop: Header=BB4_745 Depth=2
	s_or_b32 exec_lo, exec_lo, s28
.LBB4_774:                              ;   in Loop: Header=BB4_745 Depth=2
	s_delay_alu instid0(SALU_CYCLE_1)
	s_or_b32 exec_lo, exec_lo, s27
	s_mov_b32 s11, 0
.LBB4_775:                              ;   in Loop: Header=BB4_745 Depth=2
	s_delay_alu instid0(SALU_CYCLE_1)
	s_and_not1_b32 vcc_lo, exec_lo, s11
	s_cbranch_vccnz .LBB4_781
; %bb.776:                              ;   in Loop: Header=BB4_745 Depth=2
	v_mov_b32_e32 v19, v23
	s_and_saveexec_b32 s11, s26
	s_cbranch_execz .LBB4_780
; %bb.777:                              ;   in Loop: Header=BB4_745 Depth=2
	v_mov_b32_e32 v19, v22
	s_or_b32 s10, s7, s10
	s_delay_alu instid0(SALU_CYCLE_1)
	s_and_saveexec_b32 s26, s10
; %bb.778:                              ;   in Loop: Header=BB4_745 Depth=2
	v_lshrrev_b32_e32 v19, 16, v115
	v_cmp_lt_u16_e32 vcc_lo, 0x7c00, v114
	s_delay_alu instid0(VALU_DEP_2) | instskip(SKIP_1) | instid1(VALU_DEP_1)
	v_cmp_gt_f16_e64 s10, v115, v19
	s_and_b32 s7, s7, vcc_lo
	v_cndmask_b32_e64 v19, v115, v19, s10
	s_delay_alu instid0(VALU_DEP_1)
	v_cndmask_b32_e64 v19, v19, 0x7fff, s7
; %bb.779:                              ;   in Loop: Header=BB4_745 Depth=2
	s_or_b32 exec_lo, exec_lo, s26
.LBB4_780:                              ;   in Loop: Header=BB4_745 Depth=2
	s_delay_alu instid0(SALU_CYCLE_1)
	s_or_b32 exec_lo, exec_lo, s11
.LBB4_781:                              ;   in Loop: Header=BB4_745 Depth=2
	v_lshrrev_b32_e32 v114, 16, v22
	v_lshrrev_b32_e32 v116, 16, v23
	v_perm_b32 v23, v23, v22, 0x7060302
	s_mov_b32 s11, -1
	s_and_b32 vcc_lo, exec_lo, s25
	v_and_b32_e32 v117, 0x7fff, v114
	v_and_b32_e32 v115, 0x7fff, v116
                                        ; implicit-def: $vgpr22
	s_delay_alu instid0(VALU_DEP_2) | instskip(NEXT) | instid1(VALU_DEP_2)
	v_cmp_lt_u16_e64 s7, 0x7c00, v117
	v_cmp_gt_u16_e64 s10, 0x7c01, v115
	s_delay_alu instid0(VALU_DEP_1) | instskip(NEXT) | instid1(SALU_CYCLE_1)
	s_and_b32 s26, s7, s10
	s_xor_b32 s26, s26, -1
	s_cbranch_vccz .LBB4_787
; %bb.782:                              ;   in Loop: Header=BB4_745 Depth=2
	v_mov_b32_e32 v22, v116
	s_and_saveexec_b32 s27, s26
	s_cbranch_execz .LBB4_786
; %bb.783:                              ;   in Loop: Header=BB4_745 Depth=2
	v_mov_b32_e32 v22, v114
	s_or_b32 s11, s7, s10
	s_delay_alu instid0(SALU_CYCLE_1)
	s_and_saveexec_b32 s28, s11
; %bb.784:                              ;   in Loop: Header=BB4_745 Depth=2
	v_lshrrev_b32_e32 v22, 16, v23
	v_cmp_lt_u16_e32 vcc_lo, 0x7c00, v115
	s_delay_alu instid0(VALU_DEP_2) | instskip(NEXT) | instid1(VALU_DEP_1)
	v_cmp_gt_f16_e64 s11, v23, v22
	v_cndmask_b32_e64 v22, v22, v23, s11
	s_and_b32 s11, s7, vcc_lo
	s_delay_alu instid0(VALU_DEP_1) | instid1(SALU_CYCLE_1)
	v_cndmask_b32_e64 v22, v22, 0x7fff, s11
; %bb.785:                              ;   in Loop: Header=BB4_745 Depth=2
	s_or_b32 exec_lo, exec_lo, s28
.LBB4_786:                              ;   in Loop: Header=BB4_745 Depth=2
	s_delay_alu instid0(SALU_CYCLE_1)
	s_or_b32 exec_lo, exec_lo, s27
	s_mov_b32 s11, 0
.LBB4_787:                              ;   in Loop: Header=BB4_745 Depth=2
	s_delay_alu instid0(SALU_CYCLE_1)
	s_and_not1_b32 vcc_lo, exec_lo, s11
	s_cbranch_vccnz .LBB4_793
; %bb.788:                              ;   in Loop: Header=BB4_745 Depth=2
	s_and_saveexec_b32 s11, s26
	s_cbranch_execz .LBB4_792
; %bb.789:                              ;   in Loop: Header=BB4_745 Depth=2
	s_or_b32 s10, s7, s10
	s_delay_alu instid0(SALU_CYCLE_1)
	s_and_saveexec_b32 s26, s10
; %bb.790:                              ;   in Loop: Header=BB4_745 Depth=2
	v_lshrrev_b32_e32 v22, 16, v23
	v_cmp_lt_u16_e32 vcc_lo, 0x7c00, v115
	s_delay_alu instid0(VALU_DEP_2) | instskip(SKIP_1) | instid1(VALU_DEP_1)
	v_cmp_gt_f16_e64 s10, v23, v22
	s_and_b32 s7, s7, vcc_lo
	v_cndmask_b32_e64 v22, v23, v22, s10
	s_delay_alu instid0(VALU_DEP_1)
	v_cndmask_b32_e64 v114, v22, 0x7fff, s7
; %bb.791:                              ;   in Loop: Header=BB4_745 Depth=2
	s_or_b32 exec_lo, exec_lo, s26
	s_delay_alu instid0(VALU_DEP_1)
	v_mov_b32_e32 v116, v114
.LBB4_792:                              ;   in Loop: Header=BB4_745 Depth=2
	s_or_b32 exec_lo, exec_lo, s11
	s_delay_alu instid0(VALU_DEP_1)
	v_mov_b32_e32 v22, v116
.LBB4_793:                              ;   in Loop: Header=BB4_745 Depth=2
	v_and_b32_e32 v23, 0x7fff, v24
	v_and_b32_e32 v114, 0x7fff, v20
	v_perm_b32 v115, v20, v24, 0x5040100
	s_mov_b32 s11, -1
	s_and_b32 vcc_lo, exec_lo, s25
	v_cmp_lt_u16_e64 s7, 0x7c00, v23
	v_cmp_gt_u16_e64 s10, 0x7c01, v114
                                        ; implicit-def: $vgpr23
	s_delay_alu instid0(VALU_DEP_1) | instskip(NEXT) | instid1(SALU_CYCLE_1)
	s_and_b32 s26, s7, s10
	s_xor_b32 s26, s26, -1
	s_cbranch_vccz .LBB4_799
; %bb.794:                              ;   in Loop: Header=BB4_745 Depth=2
	v_mov_b32_e32 v23, v20
	s_and_saveexec_b32 s27, s26
	s_cbranch_execz .LBB4_798
; %bb.795:                              ;   in Loop: Header=BB4_745 Depth=2
	v_mov_b32_e32 v23, v24
	s_or_b32 s11, s7, s10
	s_delay_alu instid0(SALU_CYCLE_1)
	s_and_saveexec_b32 s28, s11
; %bb.796:                              ;   in Loop: Header=BB4_745 Depth=2
	v_lshrrev_b32_e32 v23, 16, v115
	v_cmp_lt_u16_e32 vcc_lo, 0x7c00, v114
	s_delay_alu instid0(VALU_DEP_2) | instskip(NEXT) | instid1(VALU_DEP_1)
	v_cmp_gt_f16_e64 s11, v115, v23
	v_cndmask_b32_e64 v23, v23, v115, s11
	s_and_b32 s11, s7, vcc_lo
	s_delay_alu instid0(VALU_DEP_1) | instid1(SALU_CYCLE_1)
	v_cndmask_b32_e64 v23, v23, 0x7fff, s11
; %bb.797:                              ;   in Loop: Header=BB4_745 Depth=2
	s_or_b32 exec_lo, exec_lo, s28
.LBB4_798:                              ;   in Loop: Header=BB4_745 Depth=2
	s_delay_alu instid0(SALU_CYCLE_1)
	s_or_b32 exec_lo, exec_lo, s27
	s_mov_b32 s11, 0
.LBB4_799:                              ;   in Loop: Header=BB4_745 Depth=2
	s_delay_alu instid0(SALU_CYCLE_1)
	s_and_not1_b32 vcc_lo, exec_lo, s11
	s_cbranch_vccnz .LBB4_805
; %bb.800:                              ;   in Loop: Header=BB4_745 Depth=2
	v_mov_b32_e32 v23, v20
	s_and_saveexec_b32 s11, s26
	s_cbranch_execz .LBB4_804
; %bb.801:                              ;   in Loop: Header=BB4_745 Depth=2
	v_mov_b32_e32 v23, v24
	s_or_b32 s10, s7, s10
	s_delay_alu instid0(SALU_CYCLE_1)
	s_and_saveexec_b32 s26, s10
; %bb.802:                              ;   in Loop: Header=BB4_745 Depth=2
	v_lshrrev_b32_e32 v23, 16, v115
	v_cmp_lt_u16_e32 vcc_lo, 0x7c00, v114
	s_delay_alu instid0(VALU_DEP_2) | instskip(SKIP_1) | instid1(VALU_DEP_1)
	v_cmp_gt_f16_e64 s10, v115, v23
	s_and_b32 s7, s7, vcc_lo
	v_cndmask_b32_e64 v23, v115, v23, s10
	s_delay_alu instid0(VALU_DEP_1)
	v_cndmask_b32_e64 v23, v23, 0x7fff, s7
; %bb.803:                              ;   in Loop: Header=BB4_745 Depth=2
	s_or_b32 exec_lo, exec_lo, s26
.LBB4_804:                              ;   in Loop: Header=BB4_745 Depth=2
	s_delay_alu instid0(SALU_CYCLE_1)
	s_or_b32 exec_lo, exec_lo, s11
.LBB4_805:                              ;   in Loop: Header=BB4_745 Depth=2
	v_mov_b32_e32 v117, v24
	v_lshrrev_b32_e32 v116, 16, v20
	s_mov_b32 s11, -1
	s_and_b32 vcc_lo, exec_lo, s25
	s_delay_alu instid0(VALU_DEP_2) | instskip(NEXT) | instid1(VALU_DEP_2)
	v_lshrrev_b32_e32 v114, 16, v117
	v_and_b32_e32 v115, 0x7fff, v116
	s_delay_alu instid0(VALU_DEP_2) | instskip(NEXT) | instid1(VALU_DEP_2)
	v_and_b32_e32 v24, 0x7fff, v114
	v_cmp_gt_u16_e64 s10, 0x7c01, v115
	v_perm_b32 v20, v20, v117, 0x7060302
	s_delay_alu instid0(VALU_DEP_3) | instskip(NEXT) | instid1(VALU_DEP_1)
	v_cmp_lt_u16_e64 s7, 0x7c00, v24
                                        ; implicit-def: $vgpr24
	s_and_b32 s26, s7, s10
	s_delay_alu instid0(SALU_CYCLE_1)
	s_xor_b32 s26, s26, -1
	s_cbranch_vccz .LBB4_811
; %bb.806:                              ;   in Loop: Header=BB4_745 Depth=2
	v_mov_b32_e32 v24, v116
	s_and_saveexec_b32 s27, s26
	s_cbranch_execz .LBB4_810
; %bb.807:                              ;   in Loop: Header=BB4_745 Depth=2
	v_mov_b32_e32 v24, v114
	s_or_b32 s11, s7, s10
	s_delay_alu instid0(SALU_CYCLE_1)
	s_and_saveexec_b32 s28, s11
; %bb.808:                              ;   in Loop: Header=BB4_745 Depth=2
	v_lshrrev_b32_e32 v24, 16, v20
	v_cmp_lt_u16_e32 vcc_lo, 0x7c00, v115
	s_delay_alu instid0(VALU_DEP_2) | instskip(NEXT) | instid1(VALU_DEP_1)
	v_cmp_gt_f16_e64 s11, v20, v24
	v_cndmask_b32_e64 v24, v24, v20, s11
	s_and_b32 s11, s7, vcc_lo
	s_delay_alu instid0(VALU_DEP_1) | instid1(SALU_CYCLE_1)
	v_cndmask_b32_e64 v24, v24, 0x7fff, s11
; %bb.809:                              ;   in Loop: Header=BB4_745 Depth=2
	s_or_b32 exec_lo, exec_lo, s28
.LBB4_810:                              ;   in Loop: Header=BB4_745 Depth=2
	s_delay_alu instid0(SALU_CYCLE_1)
	s_or_b32 exec_lo, exec_lo, s27
	s_mov_b32 s11, 0
.LBB4_811:                              ;   in Loop: Header=BB4_745 Depth=2
	s_delay_alu instid0(SALU_CYCLE_1)
	s_and_not1_b32 vcc_lo, exec_lo, s11
	s_cbranch_vccnz .LBB4_817
; %bb.812:                              ;   in Loop: Header=BB4_745 Depth=2
	s_and_saveexec_b32 s11, s26
	s_cbranch_execz .LBB4_816
; %bb.813:                              ;   in Loop: Header=BB4_745 Depth=2
	s_or_b32 s10, s7, s10
	s_delay_alu instid0(SALU_CYCLE_1)
	s_and_saveexec_b32 s26, s10
; %bb.814:                              ;   in Loop: Header=BB4_745 Depth=2
	v_lshrrev_b32_e32 v24, 16, v20
	v_cmp_lt_u16_e32 vcc_lo, 0x7c00, v115
	s_delay_alu instid0(VALU_DEP_2) | instskip(SKIP_1) | instid1(VALU_DEP_1)
	v_cmp_gt_f16_e64 s10, v20, v24
	s_and_b32 s7, s7, vcc_lo
	v_cndmask_b32_e64 v20, v20, v24, s10
	s_delay_alu instid0(VALU_DEP_1)
	v_cndmask_b32_e64 v114, v20, 0x7fff, s7
; %bb.815:                              ;   in Loop: Header=BB4_745 Depth=2
	s_or_b32 exec_lo, exec_lo, s26
	s_delay_alu instid0(VALU_DEP_1)
	v_mov_b32_e32 v116, v114
.LBB4_816:                              ;   in Loop: Header=BB4_745 Depth=2
	s_or_b32 exec_lo, exec_lo, s11
	s_delay_alu instid0(VALU_DEP_1)
	v_mov_b32_e32 v24, v116
.LBB4_817:                              ;   in Loop: Header=BB4_745 Depth=2
	v_and_b32_e32 v20, 0x7fff, v25
	v_and_b32_e32 v114, 0x7fff, v21
	v_perm_b32 v115, v21, v25, 0x5040100
	s_mov_b32 s11, -1
	s_and_b32 vcc_lo, exec_lo, s25
	v_cmp_lt_u16_e64 s7, 0x7c00, v20
	v_cmp_gt_u16_e64 s10, 0x7c01, v114
                                        ; implicit-def: $vgpr20
	s_delay_alu instid0(VALU_DEP_1) | instskip(NEXT) | instid1(SALU_CYCLE_1)
	s_and_b32 s26, s7, s10
	s_xor_b32 s26, s26, -1
	s_cbranch_vccz .LBB4_823
; %bb.818:                              ;   in Loop: Header=BB4_745 Depth=2
	v_mov_b32_e32 v20, v21
	s_and_saveexec_b32 s27, s26
	s_cbranch_execz .LBB4_822
; %bb.819:                              ;   in Loop: Header=BB4_745 Depth=2
	v_mov_b32_e32 v20, v25
	s_or_b32 s11, s7, s10
	s_delay_alu instid0(SALU_CYCLE_1)
	s_and_saveexec_b32 s28, s11
; %bb.820:                              ;   in Loop: Header=BB4_745 Depth=2
	v_lshrrev_b32_e32 v20, 16, v115
	v_cmp_lt_u16_e32 vcc_lo, 0x7c00, v114
	s_delay_alu instid0(VALU_DEP_2) | instskip(NEXT) | instid1(VALU_DEP_1)
	v_cmp_gt_f16_e64 s11, v115, v20
	v_cndmask_b32_e64 v20, v20, v115, s11
	s_and_b32 s11, s7, vcc_lo
	s_delay_alu instid0(VALU_DEP_1) | instid1(SALU_CYCLE_1)
	v_cndmask_b32_e64 v20, v20, 0x7fff, s11
; %bb.821:                              ;   in Loop: Header=BB4_745 Depth=2
	s_or_b32 exec_lo, exec_lo, s28
.LBB4_822:                              ;   in Loop: Header=BB4_745 Depth=2
	s_delay_alu instid0(SALU_CYCLE_1)
	s_or_b32 exec_lo, exec_lo, s27
	s_mov_b32 s11, 0
.LBB4_823:                              ;   in Loop: Header=BB4_745 Depth=2
	s_delay_alu instid0(SALU_CYCLE_1)
	s_and_not1_b32 vcc_lo, exec_lo, s11
	s_cbranch_vccnz .LBB4_829
; %bb.824:                              ;   in Loop: Header=BB4_745 Depth=2
	v_mov_b32_e32 v20, v21
	s_and_saveexec_b32 s11, s26
	s_cbranch_execz .LBB4_828
; %bb.825:                              ;   in Loop: Header=BB4_745 Depth=2
	v_mov_b32_e32 v20, v25
	s_or_b32 s10, s7, s10
	s_delay_alu instid0(SALU_CYCLE_1)
	s_and_saveexec_b32 s26, s10
; %bb.826:                              ;   in Loop: Header=BB4_745 Depth=2
	v_lshrrev_b32_e32 v20, 16, v115
	v_cmp_lt_u16_e32 vcc_lo, 0x7c00, v114
	s_delay_alu instid0(VALU_DEP_2) | instskip(SKIP_1) | instid1(VALU_DEP_1)
	v_cmp_gt_f16_e64 s10, v115, v20
	s_and_b32 s7, s7, vcc_lo
	v_cndmask_b32_e64 v20, v115, v20, s10
	s_delay_alu instid0(VALU_DEP_1)
	v_cndmask_b32_e64 v20, v20, 0x7fff, s7
; %bb.827:                              ;   in Loop: Header=BB4_745 Depth=2
	s_or_b32 exec_lo, exec_lo, s26
.LBB4_828:                              ;   in Loop: Header=BB4_745 Depth=2
	s_delay_alu instid0(SALU_CYCLE_1)
	s_or_b32 exec_lo, exec_lo, s11
.LBB4_829:                              ;   in Loop: Header=BB4_745 Depth=2
	v_lshrrev_b32_e32 v114, 16, v25
	v_lshrrev_b32_e32 v116, 16, v21
	v_perm_b32 v25, v21, v25, 0x7060302
	s_mov_b32 s11, -1
	s_and_b32 vcc_lo, exec_lo, s25
	v_and_b32_e32 v117, 0x7fff, v114
	v_and_b32_e32 v115, 0x7fff, v116
                                        ; implicit-def: $vgpr21
	s_delay_alu instid0(VALU_DEP_2) | instskip(NEXT) | instid1(VALU_DEP_2)
	v_cmp_lt_u16_e64 s7, 0x7c00, v117
	v_cmp_gt_u16_e64 s10, 0x7c01, v115
	s_delay_alu instid0(VALU_DEP_1) | instskip(NEXT) | instid1(SALU_CYCLE_1)
	s_and_b32 s26, s7, s10
	s_xor_b32 s26, s26, -1
	s_cbranch_vccz .LBB4_835
; %bb.830:                              ;   in Loop: Header=BB4_745 Depth=2
	v_mov_b32_e32 v21, v116
	s_and_saveexec_b32 s27, s26
	s_cbranch_execz .LBB4_834
; %bb.831:                              ;   in Loop: Header=BB4_745 Depth=2
	v_mov_b32_e32 v21, v114
	s_or_b32 s11, s7, s10
	s_delay_alu instid0(SALU_CYCLE_1)
	s_and_saveexec_b32 s28, s11
; %bb.832:                              ;   in Loop: Header=BB4_745 Depth=2
	v_lshrrev_b32_e32 v21, 16, v25
	v_cmp_lt_u16_e32 vcc_lo, 0x7c00, v115
	s_delay_alu instid0(VALU_DEP_2) | instskip(NEXT) | instid1(VALU_DEP_1)
	v_cmp_gt_f16_e64 s11, v25, v21
	v_cndmask_b32_e64 v21, v21, v25, s11
	s_and_b32 s11, s7, vcc_lo
	s_delay_alu instid0(VALU_DEP_1) | instid1(SALU_CYCLE_1)
	v_cndmask_b32_e64 v21, v21, 0x7fff, s11
; %bb.833:                              ;   in Loop: Header=BB4_745 Depth=2
	s_or_b32 exec_lo, exec_lo, s28
.LBB4_834:                              ;   in Loop: Header=BB4_745 Depth=2
	s_delay_alu instid0(SALU_CYCLE_1)
	s_or_b32 exec_lo, exec_lo, s27
	s_mov_b32 s11, 0
.LBB4_835:                              ;   in Loop: Header=BB4_745 Depth=2
	s_delay_alu instid0(SALU_CYCLE_1)
	s_and_not1_b32 vcc_lo, exec_lo, s11
	s_cbranch_vccnz .LBB4_841
; %bb.836:                              ;   in Loop: Header=BB4_745 Depth=2
	s_and_saveexec_b32 s11, s26
	s_cbranch_execz .LBB4_840
; %bb.837:                              ;   in Loop: Header=BB4_745 Depth=2
	s_or_b32 s10, s7, s10
	s_delay_alu instid0(SALU_CYCLE_1)
	s_and_saveexec_b32 s26, s10
; %bb.838:                              ;   in Loop: Header=BB4_745 Depth=2
	v_lshrrev_b32_e32 v21, 16, v25
	v_cmp_lt_u16_e32 vcc_lo, 0x7c00, v115
	s_delay_alu instid0(VALU_DEP_2) | instskip(SKIP_1) | instid1(VALU_DEP_1)
	v_cmp_gt_f16_e64 s10, v25, v21
	s_and_b32 s7, s7, vcc_lo
	v_cndmask_b32_e64 v21, v25, v21, s10
	s_delay_alu instid0(VALU_DEP_1)
	v_cndmask_b32_e64 v114, v21, 0x7fff, s7
; %bb.839:                              ;   in Loop: Header=BB4_745 Depth=2
	s_or_b32 exec_lo, exec_lo, s26
	s_delay_alu instid0(VALU_DEP_1)
	v_mov_b32_e32 v116, v114
.LBB4_840:                              ;   in Loop: Header=BB4_745 Depth=2
	s_or_b32 exec_lo, exec_lo, s11
	s_delay_alu instid0(VALU_DEP_1)
	v_mov_b32_e32 v21, v116
.LBB4_841:                              ;   in Loop: Header=BB4_745 Depth=2
	s_waitcnt vmcnt(1)
	v_and_b32_e32 v25, 0x7fff, v14
	s_waitcnt vmcnt(0)
	v_and_b32_e32 v114, 0x7fff, v10
	v_perm_b32 v115, v10, v14, 0x5040100
	s_mov_b32 s11, -1
	s_and_not1_b32 vcc_lo, exec_lo, s25
	v_cmp_lt_u16_e64 s7, 0x7c00, v25
	v_cmp_gt_u16_e64 s10, 0x7c01, v114
                                        ; implicit-def: $vgpr25
	s_delay_alu instid0(VALU_DEP_1) | instskip(NEXT) | instid1(SALU_CYCLE_1)
	s_and_b32 s26, s7, s10
	s_xor_b32 s26, s26, -1
	s_cbranch_vccnz .LBB4_847
; %bb.842:                              ;   in Loop: Header=BB4_745 Depth=2
	v_mov_b32_e32 v25, v10
	s_and_saveexec_b32 s27, s26
	s_cbranch_execz .LBB4_846
; %bb.843:                              ;   in Loop: Header=BB4_745 Depth=2
	v_mov_b32_e32 v25, v14
	s_or_b32 s11, s7, s10
	s_delay_alu instid0(SALU_CYCLE_1)
	s_and_saveexec_b32 s28, s11
; %bb.844:                              ;   in Loop: Header=BB4_745 Depth=2
	v_lshrrev_b32_e32 v25, 16, v115
	v_cmp_lt_u16_e32 vcc_lo, 0x7c00, v114
	s_delay_alu instid0(VALU_DEP_2) | instskip(NEXT) | instid1(VALU_DEP_1)
	v_cmp_gt_f16_e64 s11, v115, v25
	v_cndmask_b32_e64 v25, v25, v115, s11
	s_and_b32 s11, s7, vcc_lo
	s_delay_alu instid0(VALU_DEP_1) | instid1(SALU_CYCLE_1)
	v_cndmask_b32_e64 v25, v25, 0x7fff, s11
; %bb.845:                              ;   in Loop: Header=BB4_745 Depth=2
	s_or_b32 exec_lo, exec_lo, s28
.LBB4_846:                              ;   in Loop: Header=BB4_745 Depth=2
	s_delay_alu instid0(SALU_CYCLE_1)
	s_or_b32 exec_lo, exec_lo, s27
	s_mov_b32 s11, 0
.LBB4_847:                              ;   in Loop: Header=BB4_745 Depth=2
	s_delay_alu instid0(SALU_CYCLE_1)
	s_and_not1_b32 vcc_lo, exec_lo, s11
	s_cbranch_vccnz .LBB4_853
; %bb.848:                              ;   in Loop: Header=BB4_745 Depth=2
	v_mov_b32_e32 v25, v10
	s_and_saveexec_b32 s11, s26
	s_cbranch_execz .LBB4_852
; %bb.849:                              ;   in Loop: Header=BB4_745 Depth=2
	v_mov_b32_e32 v25, v14
	s_or_b32 s10, s7, s10
	s_delay_alu instid0(SALU_CYCLE_1)
	s_and_saveexec_b32 s26, s10
; %bb.850:                              ;   in Loop: Header=BB4_745 Depth=2
	v_lshrrev_b32_e32 v25, 16, v115
	v_cmp_lt_u16_e32 vcc_lo, 0x7c00, v114
	s_delay_alu instid0(VALU_DEP_2) | instskip(SKIP_1) | instid1(VALU_DEP_1)
	v_cmp_gt_f16_e64 s10, v115, v25
	s_and_b32 s7, s7, vcc_lo
	v_cndmask_b32_e64 v25, v115, v25, s10
	s_delay_alu instid0(VALU_DEP_1)
	v_cndmask_b32_e64 v25, v25, 0x7fff, s7
; %bb.851:                              ;   in Loop: Header=BB4_745 Depth=2
	s_or_b32 exec_lo, exec_lo, s26
.LBB4_852:                              ;   in Loop: Header=BB4_745 Depth=2
	s_delay_alu instid0(SALU_CYCLE_1)
	s_or_b32 exec_lo, exec_lo, s11
.LBB4_853:                              ;   in Loop: Header=BB4_745 Depth=2
	v_mov_b32_e32 v117, v14
	v_lshrrev_b32_e32 v116, 16, v10
	s_mov_b32 s11, -1
	s_and_not1_b32 vcc_lo, exec_lo, s25
	s_delay_alu instid0(VALU_DEP_2) | instskip(NEXT) | instid1(VALU_DEP_2)
	v_lshrrev_b32_e32 v114, 16, v117
	v_and_b32_e32 v115, 0x7fff, v116
	s_delay_alu instid0(VALU_DEP_2) | instskip(NEXT) | instid1(VALU_DEP_1)
	v_and_b32_e32 v14, 0x7fff, v114
	v_cmp_lt_u16_e64 s7, 0x7c00, v14
	v_mov_b32_e32 v14, v15
	s_delay_alu instid0(VALU_DEP_4) | instskip(SKIP_2) | instid1(VALU_DEP_3)
	v_cmp_gt_u16_e64 s10, 0x7c01, v115
	v_mov_b32_e32 v15, v11
	v_perm_b32 v11, v10, v117, 0x7060302
                                        ; implicit-def: $vgpr10
	s_and_b32 s26, s7, s10
	s_delay_alu instid0(SALU_CYCLE_1)
	s_xor_b32 s26, s26, -1
	s_cbranch_vccnz .LBB4_859
; %bb.854:                              ;   in Loop: Header=BB4_745 Depth=2
	v_mov_b32_e32 v10, v116
	s_and_saveexec_b32 s27, s26
	s_cbranch_execz .LBB4_858
; %bb.855:                              ;   in Loop: Header=BB4_745 Depth=2
	v_mov_b32_e32 v10, v114
	s_or_b32 s11, s7, s10
	s_delay_alu instid0(SALU_CYCLE_1)
	s_and_saveexec_b32 s28, s11
; %bb.856:                              ;   in Loop: Header=BB4_745 Depth=2
	v_lshrrev_b32_e32 v10, 16, v11
	v_cmp_lt_u16_e32 vcc_lo, 0x7c00, v115
	s_delay_alu instid0(VALU_DEP_2) | instskip(NEXT) | instid1(VALU_DEP_1)
	v_cmp_gt_f16_e64 s11, v11, v10
	v_cndmask_b32_e64 v10, v10, v11, s11
	s_and_b32 s11, s7, vcc_lo
	s_delay_alu instid0(VALU_DEP_1) | instid1(SALU_CYCLE_1)
	v_cndmask_b32_e64 v10, v10, 0x7fff, s11
; %bb.857:                              ;   in Loop: Header=BB4_745 Depth=2
	s_or_b32 exec_lo, exec_lo, s28
.LBB4_858:                              ;   in Loop: Header=BB4_745 Depth=2
	s_delay_alu instid0(SALU_CYCLE_1)
	s_or_b32 exec_lo, exec_lo, s27
	s_mov_b32 s11, 0
.LBB4_859:                              ;   in Loop: Header=BB4_745 Depth=2
	s_delay_alu instid0(SALU_CYCLE_1)
	s_and_not1_b32 vcc_lo, exec_lo, s11
	s_cbranch_vccnz .LBB4_865
; %bb.860:                              ;   in Loop: Header=BB4_745 Depth=2
	s_and_saveexec_b32 s11, s26
	s_cbranch_execz .LBB4_864
; %bb.861:                              ;   in Loop: Header=BB4_745 Depth=2
	s_or_b32 s10, s7, s10
	s_delay_alu instid0(SALU_CYCLE_1)
	s_and_saveexec_b32 s26, s10
; %bb.862:                              ;   in Loop: Header=BB4_745 Depth=2
	v_lshrrev_b32_e32 v10, 16, v11
	v_cmp_lt_u16_e32 vcc_lo, 0x7c00, v115
	s_delay_alu instid0(VALU_DEP_2) | instskip(SKIP_1) | instid1(VALU_DEP_1)
	v_cmp_gt_f16_e64 s10, v11, v10
	s_and_b32 s7, s7, vcc_lo
	v_cndmask_b32_e64 v10, v11, v10, s10
	s_delay_alu instid0(VALU_DEP_1)
	v_cndmask_b32_e64 v114, v10, 0x7fff, s7
; %bb.863:                              ;   in Loop: Header=BB4_745 Depth=2
	s_or_b32 exec_lo, exec_lo, s26
	s_delay_alu instid0(VALU_DEP_1)
	v_mov_b32_e32 v116, v114
.LBB4_864:                              ;   in Loop: Header=BB4_745 Depth=2
	s_or_b32 exec_lo, exec_lo, s11
	s_delay_alu instid0(VALU_DEP_1)
	v_mov_b32_e32 v10, v116
.LBB4_865:                              ;   in Loop: Header=BB4_745 Depth=2
	v_and_b32_e32 v11, 0x7fff, v14
	v_and_b32_e32 v114, 0x7fff, v15
	v_perm_b32 v115, v15, v14, 0x5040100
	s_mov_b32 s11, -1
	s_and_not1_b32 vcc_lo, exec_lo, s25
	v_cmp_lt_u16_e64 s7, 0x7c00, v11
	v_cmp_gt_u16_e64 s10, 0x7c01, v114
                                        ; implicit-def: $vgpr11
	s_delay_alu instid0(VALU_DEP_1) | instskip(NEXT) | instid1(SALU_CYCLE_1)
	s_and_b32 s26, s7, s10
	s_xor_b32 s26, s26, -1
	s_cbranch_vccnz .LBB4_871
; %bb.866:                              ;   in Loop: Header=BB4_745 Depth=2
	v_mov_b32_e32 v11, v15
	s_and_saveexec_b32 s27, s26
	s_cbranch_execz .LBB4_870
; %bb.867:                              ;   in Loop: Header=BB4_745 Depth=2
	v_mov_b32_e32 v11, v14
	s_or_b32 s11, s7, s10
	s_delay_alu instid0(SALU_CYCLE_1)
	s_and_saveexec_b32 s28, s11
; %bb.868:                              ;   in Loop: Header=BB4_745 Depth=2
	v_lshrrev_b32_e32 v11, 16, v115
	v_cmp_lt_u16_e32 vcc_lo, 0x7c00, v114
	s_delay_alu instid0(VALU_DEP_2) | instskip(NEXT) | instid1(VALU_DEP_1)
	v_cmp_gt_f16_e64 s11, v115, v11
	v_cndmask_b32_e64 v11, v11, v115, s11
	s_and_b32 s11, s7, vcc_lo
	s_delay_alu instid0(VALU_DEP_1) | instid1(SALU_CYCLE_1)
	v_cndmask_b32_e64 v11, v11, 0x7fff, s11
; %bb.869:                              ;   in Loop: Header=BB4_745 Depth=2
	s_or_b32 exec_lo, exec_lo, s28
.LBB4_870:                              ;   in Loop: Header=BB4_745 Depth=2
	s_delay_alu instid0(SALU_CYCLE_1)
	s_or_b32 exec_lo, exec_lo, s27
	s_mov_b32 s11, 0
.LBB4_871:                              ;   in Loop: Header=BB4_745 Depth=2
	s_delay_alu instid0(SALU_CYCLE_1)
	s_and_not1_b32 vcc_lo, exec_lo, s11
	s_cbranch_vccnz .LBB4_877
; %bb.872:                              ;   in Loop: Header=BB4_745 Depth=2
	v_mov_b32_e32 v11, v15
	s_and_saveexec_b32 s11, s26
	s_cbranch_execz .LBB4_876
; %bb.873:                              ;   in Loop: Header=BB4_745 Depth=2
	v_mov_b32_e32 v11, v14
	s_or_b32 s10, s7, s10
	s_delay_alu instid0(SALU_CYCLE_1)
	s_and_saveexec_b32 s26, s10
; %bb.874:                              ;   in Loop: Header=BB4_745 Depth=2
	v_lshrrev_b32_e32 v11, 16, v115
	v_cmp_lt_u16_e32 vcc_lo, 0x7c00, v114
	s_delay_alu instid0(VALU_DEP_2) | instskip(SKIP_1) | instid1(VALU_DEP_1)
	v_cmp_gt_f16_e64 s10, v115, v11
	s_and_b32 s7, s7, vcc_lo
	v_cndmask_b32_e64 v11, v115, v11, s10
	s_delay_alu instid0(VALU_DEP_1)
	v_cndmask_b32_e64 v11, v11, 0x7fff, s7
; %bb.875:                              ;   in Loop: Header=BB4_745 Depth=2
	s_or_b32 exec_lo, exec_lo, s26
.LBB4_876:                              ;   in Loop: Header=BB4_745 Depth=2
	s_delay_alu instid0(SALU_CYCLE_1)
	s_or_b32 exec_lo, exec_lo, s11
.LBB4_877:                              ;   in Loop: Header=BB4_745 Depth=2
	v_lshrrev_b32_e32 v114, 16, v14
	v_lshrrev_b32_e32 v116, 16, v15
	v_perm_b32 v15, v15, v14, 0x7060302
	s_mov_b32 s11, -1
	s_and_not1_b32 vcc_lo, exec_lo, s25
	v_and_b32_e32 v117, 0x7fff, v114
	v_and_b32_e32 v115, 0x7fff, v116
                                        ; implicit-def: $vgpr14
	s_delay_alu instid0(VALU_DEP_2) | instskip(NEXT) | instid1(VALU_DEP_2)
	v_cmp_lt_u16_e64 s7, 0x7c00, v117
	v_cmp_gt_u16_e64 s10, 0x7c01, v115
	s_delay_alu instid0(VALU_DEP_1) | instskip(NEXT) | instid1(SALU_CYCLE_1)
	s_and_b32 s26, s7, s10
	s_xor_b32 s26, s26, -1
	s_cbranch_vccnz .LBB4_883
; %bb.878:                              ;   in Loop: Header=BB4_745 Depth=2
	v_mov_b32_e32 v14, v116
	s_and_saveexec_b32 s27, s26
	s_cbranch_execz .LBB4_882
; %bb.879:                              ;   in Loop: Header=BB4_745 Depth=2
	v_mov_b32_e32 v14, v114
	s_or_b32 s11, s7, s10
	s_delay_alu instid0(SALU_CYCLE_1)
	s_and_saveexec_b32 s28, s11
; %bb.880:                              ;   in Loop: Header=BB4_745 Depth=2
	v_lshrrev_b32_e32 v14, 16, v15
	v_cmp_lt_u16_e32 vcc_lo, 0x7c00, v115
	s_delay_alu instid0(VALU_DEP_2) | instskip(NEXT) | instid1(VALU_DEP_1)
	v_cmp_gt_f16_e64 s11, v15, v14
	v_cndmask_b32_e64 v14, v14, v15, s11
	s_and_b32 s11, s7, vcc_lo
	s_delay_alu instid0(VALU_DEP_1) | instid1(SALU_CYCLE_1)
	v_cndmask_b32_e64 v14, v14, 0x7fff, s11
; %bb.881:                              ;   in Loop: Header=BB4_745 Depth=2
	s_or_b32 exec_lo, exec_lo, s28
.LBB4_882:                              ;   in Loop: Header=BB4_745 Depth=2
	s_delay_alu instid0(SALU_CYCLE_1)
	s_or_b32 exec_lo, exec_lo, s27
	s_mov_b32 s11, 0
.LBB4_883:                              ;   in Loop: Header=BB4_745 Depth=2
	s_delay_alu instid0(SALU_CYCLE_1)
	s_and_not1_b32 vcc_lo, exec_lo, s11
	s_cbranch_vccnz .LBB4_889
; %bb.884:                              ;   in Loop: Header=BB4_745 Depth=2
	s_and_saveexec_b32 s11, s26
	s_cbranch_execz .LBB4_888
; %bb.885:                              ;   in Loop: Header=BB4_745 Depth=2
	s_or_b32 s10, s7, s10
	s_delay_alu instid0(SALU_CYCLE_1)
	s_and_saveexec_b32 s26, s10
; %bb.886:                              ;   in Loop: Header=BB4_745 Depth=2
	v_lshrrev_b32_e32 v14, 16, v15
	v_cmp_lt_u16_e32 vcc_lo, 0x7c00, v115
	s_delay_alu instid0(VALU_DEP_2) | instskip(SKIP_1) | instid1(VALU_DEP_1)
	v_cmp_gt_f16_e64 s10, v15, v14
	s_and_b32 s7, s7, vcc_lo
	v_cndmask_b32_e64 v14, v15, v14, s10
	s_delay_alu instid0(VALU_DEP_1)
	v_cndmask_b32_e64 v114, v14, 0x7fff, s7
; %bb.887:                              ;   in Loop: Header=BB4_745 Depth=2
	s_or_b32 exec_lo, exec_lo, s26
	s_delay_alu instid0(VALU_DEP_1)
	v_mov_b32_e32 v116, v114
.LBB4_888:                              ;   in Loop: Header=BB4_745 Depth=2
	s_or_b32 exec_lo, exec_lo, s11
	s_delay_alu instid0(VALU_DEP_1)
	v_mov_b32_e32 v14, v116
.LBB4_889:                              ;   in Loop: Header=BB4_745 Depth=2
	v_and_b32_e32 v15, 0x7fff, v16
	v_and_b32_e32 v114, 0x7fff, v12
	v_perm_b32 v115, v12, v16, 0x5040100
	s_mov_b32 s11, -1
	s_and_not1_b32 vcc_lo, exec_lo, s25
	v_cmp_lt_u16_e64 s7, 0x7c00, v15
	v_cmp_gt_u16_e64 s10, 0x7c01, v114
                                        ; implicit-def: $vgpr15
	s_delay_alu instid0(VALU_DEP_1) | instskip(NEXT) | instid1(SALU_CYCLE_1)
	s_and_b32 s26, s7, s10
	s_xor_b32 s26, s26, -1
	s_cbranch_vccnz .LBB4_895
; %bb.890:                              ;   in Loop: Header=BB4_745 Depth=2
	v_mov_b32_e32 v15, v12
	s_and_saveexec_b32 s27, s26
	s_cbranch_execz .LBB4_894
; %bb.891:                              ;   in Loop: Header=BB4_745 Depth=2
	v_mov_b32_e32 v15, v16
	s_or_b32 s11, s7, s10
	s_delay_alu instid0(SALU_CYCLE_1)
	s_and_saveexec_b32 s28, s11
; %bb.892:                              ;   in Loop: Header=BB4_745 Depth=2
	v_lshrrev_b32_e32 v15, 16, v115
	v_cmp_lt_u16_e32 vcc_lo, 0x7c00, v114
	s_delay_alu instid0(VALU_DEP_2) | instskip(NEXT) | instid1(VALU_DEP_1)
	v_cmp_gt_f16_e64 s11, v115, v15
	v_cndmask_b32_e64 v15, v15, v115, s11
	s_and_b32 s11, s7, vcc_lo
	s_delay_alu instid0(VALU_DEP_1) | instid1(SALU_CYCLE_1)
	v_cndmask_b32_e64 v15, v15, 0x7fff, s11
; %bb.893:                              ;   in Loop: Header=BB4_745 Depth=2
	s_or_b32 exec_lo, exec_lo, s28
.LBB4_894:                              ;   in Loop: Header=BB4_745 Depth=2
	s_delay_alu instid0(SALU_CYCLE_1)
	s_or_b32 exec_lo, exec_lo, s27
	s_mov_b32 s11, 0
.LBB4_895:                              ;   in Loop: Header=BB4_745 Depth=2
	s_delay_alu instid0(SALU_CYCLE_1)
	s_and_not1_b32 vcc_lo, exec_lo, s11
	s_cbranch_vccnz .LBB4_901
; %bb.896:                              ;   in Loop: Header=BB4_745 Depth=2
	v_mov_b32_e32 v15, v12
	s_and_saveexec_b32 s11, s26
	s_cbranch_execz .LBB4_900
; %bb.897:                              ;   in Loop: Header=BB4_745 Depth=2
	v_mov_b32_e32 v15, v16
	s_or_b32 s10, s7, s10
	s_delay_alu instid0(SALU_CYCLE_1)
	s_and_saveexec_b32 s26, s10
; %bb.898:                              ;   in Loop: Header=BB4_745 Depth=2
	v_lshrrev_b32_e32 v15, 16, v115
	v_cmp_lt_u16_e32 vcc_lo, 0x7c00, v114
	s_delay_alu instid0(VALU_DEP_2) | instskip(SKIP_1) | instid1(VALU_DEP_1)
	v_cmp_gt_f16_e64 s10, v115, v15
	s_and_b32 s7, s7, vcc_lo
	v_cndmask_b32_e64 v15, v115, v15, s10
	s_delay_alu instid0(VALU_DEP_1)
	v_cndmask_b32_e64 v15, v15, 0x7fff, s7
; %bb.899:                              ;   in Loop: Header=BB4_745 Depth=2
	s_or_b32 exec_lo, exec_lo, s26
.LBB4_900:                              ;   in Loop: Header=BB4_745 Depth=2
	s_delay_alu instid0(SALU_CYCLE_1)
	s_or_b32 exec_lo, exec_lo, s11
.LBB4_901:                              ;   in Loop: Header=BB4_745 Depth=2
	v_mov_b32_e32 v117, v16
	v_lshrrev_b32_e32 v116, 16, v12
	s_mov_b32 s11, -1
	s_and_not1_b32 vcc_lo, exec_lo, s25
	s_delay_alu instid0(VALU_DEP_2) | instskip(NEXT) | instid1(VALU_DEP_2)
	v_lshrrev_b32_e32 v114, 16, v117
	v_and_b32_e32 v115, 0x7fff, v116
	s_delay_alu instid0(VALU_DEP_2) | instskip(NEXT) | instid1(VALU_DEP_1)
	v_and_b32_e32 v16, 0x7fff, v114
	v_cmp_lt_u16_e64 s7, 0x7c00, v16
	v_mov_b32_e32 v16, v17
	s_delay_alu instid0(VALU_DEP_4) | instskip(SKIP_1) | instid1(VALU_DEP_2)
	v_cmp_gt_u16_e64 s10, 0x7c01, v115
	v_perm_b32 v17, v12, v117, 0x7060302
                                        ; implicit-def: $vgpr12
	s_and_b32 s26, s7, s10
	s_delay_alu instid0(SALU_CYCLE_1)
	s_xor_b32 s26, s26, -1
	s_cbranch_vccnz .LBB4_907
; %bb.902:                              ;   in Loop: Header=BB4_745 Depth=2
	v_mov_b32_e32 v12, v116
	s_and_saveexec_b32 s27, s26
	s_cbranch_execz .LBB4_906
; %bb.903:                              ;   in Loop: Header=BB4_745 Depth=2
	v_mov_b32_e32 v12, v114
	s_or_b32 s11, s7, s10
	s_delay_alu instid0(SALU_CYCLE_1)
	s_and_saveexec_b32 s28, s11
; %bb.904:                              ;   in Loop: Header=BB4_745 Depth=2
	v_lshrrev_b32_e32 v12, 16, v17
	v_cmp_lt_u16_e32 vcc_lo, 0x7c00, v115
	s_delay_alu instid0(VALU_DEP_2) | instskip(NEXT) | instid1(VALU_DEP_1)
	v_cmp_gt_f16_e64 s11, v17, v12
	v_cndmask_b32_e64 v12, v12, v17, s11
	s_and_b32 s11, s7, vcc_lo
	s_delay_alu instid0(VALU_DEP_1) | instid1(SALU_CYCLE_1)
	v_cndmask_b32_e64 v12, v12, 0x7fff, s11
; %bb.905:                              ;   in Loop: Header=BB4_745 Depth=2
	s_or_b32 exec_lo, exec_lo, s28
.LBB4_906:                              ;   in Loop: Header=BB4_745 Depth=2
	s_delay_alu instid0(SALU_CYCLE_1)
	s_or_b32 exec_lo, exec_lo, s27
	s_mov_b32 s11, 0
.LBB4_907:                              ;   in Loop: Header=BB4_745 Depth=2
	s_delay_alu instid0(SALU_CYCLE_1)
	s_and_not1_b32 vcc_lo, exec_lo, s11
	s_cbranch_vccnz .LBB4_913
; %bb.908:                              ;   in Loop: Header=BB4_745 Depth=2
	s_and_saveexec_b32 s11, s26
	s_cbranch_execz .LBB4_912
; %bb.909:                              ;   in Loop: Header=BB4_745 Depth=2
	s_or_b32 s10, s7, s10
	s_delay_alu instid0(SALU_CYCLE_1)
	s_and_saveexec_b32 s26, s10
; %bb.910:                              ;   in Loop: Header=BB4_745 Depth=2
	v_lshrrev_b32_e32 v12, 16, v17
	v_cmp_lt_u16_e32 vcc_lo, 0x7c00, v115
	s_delay_alu instid0(VALU_DEP_2) | instskip(SKIP_1) | instid1(VALU_DEP_1)
	v_cmp_gt_f16_e64 s10, v17, v12
	s_and_b32 s7, s7, vcc_lo
	v_cndmask_b32_e64 v12, v17, v12, s10
	s_delay_alu instid0(VALU_DEP_1)
	v_cndmask_b32_e64 v114, v12, 0x7fff, s7
; %bb.911:                              ;   in Loop: Header=BB4_745 Depth=2
	s_or_b32 exec_lo, exec_lo, s26
	s_delay_alu instid0(VALU_DEP_1)
	v_mov_b32_e32 v116, v114
.LBB4_912:                              ;   in Loop: Header=BB4_745 Depth=2
	s_or_b32 exec_lo, exec_lo, s11
	s_delay_alu instid0(VALU_DEP_1)
	v_mov_b32_e32 v12, v116
.LBB4_913:                              ;   in Loop: Header=BB4_745 Depth=2
	v_and_b32_e32 v17, 0x7fff, v16
	v_and_b32_e32 v114, 0x7fff, v13
	v_perm_b32 v115, v13, v16, 0x5040100
	s_mov_b32 s11, -1
	s_and_not1_b32 vcc_lo, exec_lo, s25
	v_cmp_lt_u16_e64 s7, 0x7c00, v17
	v_cmp_gt_u16_e64 s10, 0x7c01, v114
                                        ; implicit-def: $vgpr17
	s_delay_alu instid0(VALU_DEP_1) | instskip(NEXT) | instid1(SALU_CYCLE_1)
	s_and_b32 s26, s7, s10
	s_xor_b32 s26, s26, -1
	s_cbranch_vccnz .LBB4_919
; %bb.914:                              ;   in Loop: Header=BB4_745 Depth=2
	v_mov_b32_e32 v17, v13
	s_and_saveexec_b32 s27, s26
	s_cbranch_execz .LBB4_918
; %bb.915:                              ;   in Loop: Header=BB4_745 Depth=2
	v_mov_b32_e32 v17, v16
	s_or_b32 s11, s7, s10
	s_delay_alu instid0(SALU_CYCLE_1)
	s_and_saveexec_b32 s28, s11
; %bb.916:                              ;   in Loop: Header=BB4_745 Depth=2
	v_lshrrev_b32_e32 v17, 16, v115
	v_cmp_lt_u16_e32 vcc_lo, 0x7c00, v114
	s_delay_alu instid0(VALU_DEP_2) | instskip(NEXT) | instid1(VALU_DEP_1)
	v_cmp_gt_f16_e64 s11, v115, v17
	v_cndmask_b32_e64 v17, v17, v115, s11
	s_and_b32 s11, s7, vcc_lo
	s_delay_alu instid0(VALU_DEP_1) | instid1(SALU_CYCLE_1)
	v_cndmask_b32_e64 v17, v17, 0x7fff, s11
; %bb.917:                              ;   in Loop: Header=BB4_745 Depth=2
	s_or_b32 exec_lo, exec_lo, s28
.LBB4_918:                              ;   in Loop: Header=BB4_745 Depth=2
	s_delay_alu instid0(SALU_CYCLE_1)
	s_or_b32 exec_lo, exec_lo, s27
	s_mov_b32 s11, 0
.LBB4_919:                              ;   in Loop: Header=BB4_745 Depth=2
	s_delay_alu instid0(SALU_CYCLE_1)
	s_and_not1_b32 vcc_lo, exec_lo, s11
	s_cbranch_vccnz .LBB4_925
; %bb.920:                              ;   in Loop: Header=BB4_745 Depth=2
	v_mov_b32_e32 v17, v13
	s_and_saveexec_b32 s11, s26
	s_cbranch_execz .LBB4_924
; %bb.921:                              ;   in Loop: Header=BB4_745 Depth=2
	v_mov_b32_e32 v17, v16
	s_or_b32 s10, s7, s10
	s_delay_alu instid0(SALU_CYCLE_1)
	s_and_saveexec_b32 s26, s10
; %bb.922:                              ;   in Loop: Header=BB4_745 Depth=2
	v_lshrrev_b32_e32 v17, 16, v115
	v_cmp_lt_u16_e32 vcc_lo, 0x7c00, v114
	s_delay_alu instid0(VALU_DEP_2) | instskip(SKIP_1) | instid1(VALU_DEP_1)
	v_cmp_gt_f16_e64 s10, v115, v17
	s_and_b32 s7, s7, vcc_lo
	v_cndmask_b32_e64 v17, v115, v17, s10
	s_delay_alu instid0(VALU_DEP_1)
	v_cndmask_b32_e64 v17, v17, 0x7fff, s7
; %bb.923:                              ;   in Loop: Header=BB4_745 Depth=2
	s_or_b32 exec_lo, exec_lo, s26
.LBB4_924:                              ;   in Loop: Header=BB4_745 Depth=2
	s_delay_alu instid0(SALU_CYCLE_1)
	s_or_b32 exec_lo, exec_lo, s11
.LBB4_925:                              ;   in Loop: Header=BB4_745 Depth=2
	v_lshrrev_b32_e32 v114, 16, v16
	v_lshrrev_b32_e32 v116, 16, v13
	v_perm_b32 v13, v13, v16, 0x7060302
	s_mov_b32 s11, -1
	s_and_not1_b32 vcc_lo, exec_lo, s25
	v_and_b32_e32 v117, 0x7fff, v114
	v_and_b32_e32 v115, 0x7fff, v116
                                        ; implicit-def: $vgpr16
	s_delay_alu instid0(VALU_DEP_2) | instskip(NEXT) | instid1(VALU_DEP_2)
	v_cmp_lt_u16_e64 s7, 0x7c00, v117
	v_cmp_gt_u16_e64 s10, 0x7c01, v115
	s_delay_alu instid0(VALU_DEP_1) | instskip(NEXT) | instid1(SALU_CYCLE_1)
	s_and_b32 s26, s7, s10
	s_xor_b32 s26, s26, -1
	s_cbranch_vccnz .LBB4_931
; %bb.926:                              ;   in Loop: Header=BB4_745 Depth=2
	v_mov_b32_e32 v16, v116
	s_and_saveexec_b32 s27, s26
	s_cbranch_execz .LBB4_930
; %bb.927:                              ;   in Loop: Header=BB4_745 Depth=2
	v_mov_b32_e32 v16, v114
	s_or_b32 s11, s7, s10
	s_delay_alu instid0(SALU_CYCLE_1)
	s_and_saveexec_b32 s28, s11
; %bb.928:                              ;   in Loop: Header=BB4_745 Depth=2
	v_lshrrev_b32_e32 v16, 16, v13
	v_cmp_lt_u16_e32 vcc_lo, 0x7c00, v115
	s_delay_alu instid0(VALU_DEP_2) | instskip(NEXT) | instid1(VALU_DEP_1)
	v_cmp_gt_f16_e64 s11, v13, v16
	v_cndmask_b32_e64 v16, v16, v13, s11
	s_and_b32 s11, s7, vcc_lo
	s_delay_alu instid0(VALU_DEP_1) | instid1(SALU_CYCLE_1)
	v_cndmask_b32_e64 v16, v16, 0x7fff, s11
; %bb.929:                              ;   in Loop: Header=BB4_745 Depth=2
	s_or_b32 exec_lo, exec_lo, s28
.LBB4_930:                              ;   in Loop: Header=BB4_745 Depth=2
	s_delay_alu instid0(SALU_CYCLE_1)
	s_or_b32 exec_lo, exec_lo, s27
	s_mov_b32 s11, 0
.LBB4_931:                              ;   in Loop: Header=BB4_745 Depth=2
	s_delay_alu instid0(SALU_CYCLE_1)
	s_and_not1_b32 vcc_lo, exec_lo, s11
	s_cbranch_vccnz .LBB4_744
; %bb.932:                              ;   in Loop: Header=BB4_745 Depth=2
	s_and_saveexec_b32 s11, s26
	s_cbranch_execz .LBB4_743
; %bb.933:                              ;   in Loop: Header=BB4_745 Depth=2
	s_or_b32 s10, s7, s10
	s_delay_alu instid0(SALU_CYCLE_1)
	s_and_saveexec_b32 s26, s10
	s_cbranch_execz .LBB4_742
; %bb.934:                              ;   in Loop: Header=BB4_745 Depth=2
	v_lshrrev_b32_e32 v16, 16, v13
	v_cmp_lt_u16_e32 vcc_lo, 0x7c00, v115
	s_delay_alu instid0(VALU_DEP_2) | instskip(SKIP_1) | instid1(VALU_DEP_1)
	v_cmp_gt_f16_e64 s10, v13, v16
	s_and_b32 s7, s7, vcc_lo
	v_cndmask_b32_e64 v13, v13, v16, s10
	s_delay_alu instid0(VALU_DEP_1)
	v_cndmask_b32_e64 v114, v13, 0x7fff, s7
	s_branch .LBB4_742
.LBB4_935:                              ;   in Loop: Header=BB4_657 Depth=1
	s_or_b32 exec_lo, exec_lo, s24
.LBB4_936:                              ;   in Loop: Header=BB4_657 Depth=1
	s_delay_alu instid0(SALU_CYCLE_1) | instskip(SKIP_4) | instid1(VALU_DEP_2)
	s_or_b32 exec_lo, exec_lo, s12
	v_lshlrev_b32_e32 v24, 10, v112
	v_mov_b32_e32 v16, 0
	s_mov_b32 s7, 0
	s_mov_b32 s24, exec_lo
                                        ; implicit-def: $vgpr17
                                        ; implicit-def: $vgpr10
	v_cmpx_ne_u32_e64 v102, v24
	s_cbranch_execz .LBB4_1041
; %bb.937:                              ;   in Loop: Header=BB4_657 Depth=1
	v_lshlrev_b32_e32 v10, 5, v103
	v_sub_nc_u32_e32 v12, v102, v24
	s_mov_b32 s25, exec_lo
	s_delay_alu instid0(VALU_DEP_2) | instskip(NEXT) | instid1(VALU_DEP_2)
	v_sub_nc_u32_e32 v10, v84, v10
	v_ashrrev_i32_e32 v13, 31, v12
	s_delay_alu instid0(VALU_DEP_2) | instskip(NEXT) | instid1(VALU_DEP_2)
	v_ashrrev_i32_e32 v11, 31, v10
	v_lshrrev_b32_e32 v13, 23, v13
	s_delay_alu instid0(VALU_DEP_2) | instskip(NEXT) | instid1(VALU_DEP_2)
	v_lshrrev_b32_e32 v11, 27, v11
	v_add_nc_u32_e32 v13, v12, v13
	s_delay_alu instid0(VALU_DEP_2) | instskip(NEXT) | instid1(VALU_DEP_2)
	v_add_nc_u32_e32 v11, v10, v11
	v_and_b32_e32 v25, 0xfffffe00, v13
	v_ashrrev_i32_e32 v13, 9, v13
	s_delay_alu instid0(VALU_DEP_3) | instskip(NEXT) | instid1(VALU_DEP_3)
	v_and_b32_e32 v14, 0xffffffe0, v11
	v_sub_nc_u32_e32 v65, v12, v25
	v_ashrrev_i32_e32 v11, 5, v11
	s_delay_alu instid0(VALU_DEP_3) | instskip(NEXT) | instid1(VALU_DEP_3)
	v_sub_nc_u32_e32 v64, v10, v14
	v_cmp_lt_i32_e64 s7, 15, v65
	s_delay_alu instid0(VALU_DEP_2) | instskip(NEXT) | instid1(VALU_DEP_2)
	v_lshlrev_b32_e32 v10, 4, v64
	v_add_co_ci_u32_e64 v13, vcc_lo, 0, v13, s7
	s_delay_alu instid0(VALU_DEP_2) | instskip(NEXT) | instid1(VALU_DEP_2)
	v_lshl_add_u32 v10, v11, 9, v10
	v_sub_nc_u32_e32 v66, v13, v11
	s_delay_alu instid0(VALU_DEP_2) | instskip(NEXT) | instid1(VALU_DEP_1)
	v_sub_nc_u32_e32 v67, v12, v10
	v_cmpx_lt_i32_e32 15, v67
	s_cbranch_execz .LBB4_1038
; %bb.938:                              ;   in Loop: Header=BB4_657 Depth=1
	s_cbranch_execnz .LBB4_1706
; %bb.939:                              ;   in Loop: Header=BB4_657 Depth=1
	ds_load_b128 v[11:14], v0
	ds_load_b64 v[15:16], v0
	v_add_nc_u32_e32 v10, v10, v24
	s_bitcmp1_b32 s23, 0
	s_mov_b32 s26, 0
	s_cselect_b32 s27, -1, 0
	s_delay_alu instid0(VALU_DEP_1) | instskip(SKIP_2) | instid1(VALU_DEP_2)
	v_ashrrev_i32_e32 v17, 31, v10
	s_waitcnt lgkmcnt(1)
	v_add_co_u32 v18, vcc_lo, v11, v10
	v_add_co_ci_u32_e32 v19, vcc_lo, v12, v17, vcc_lo
	v_add_co_u32 v20, vcc_lo, v13, v10
	v_add_co_ci_u32_e32 v21, vcc_lo, v14, v17, vcc_lo
	s_waitcnt lgkmcnt(0)
	v_add_co_u32 v22, vcc_lo, v15, v10
	v_add_co_ci_u32_e32 v23, vcc_lo, v16, v17, vcc_lo
	s_branch .LBB4_943
.LBB4_940:                              ;   in Loop: Header=BB4_943 Depth=2
	s_or_b32 exec_lo, exec_lo, s28
	s_delay_alu instid0(VALU_DEP_1)
	v_mov_b32_e32 v112, v69
.LBB4_941:                              ;   in Loop: Header=BB4_943 Depth=2
	s_or_b32 exec_lo, exec_lo, s12
	s_delay_alu instid0(VALU_DEP_1)
	v_mov_b32_e32 v17, v112
.LBB4_942:                              ;   in Loop: Header=BB4_943 Depth=2
	v_lshlrev_b32_e32 v10, 16, v10
	v_and_b32_e32 v13, 0xffff, v68
	v_lshlrev_b32_e32 v16, 16, v16
	v_and_b32_e32 v15, 0xffff, v15
	;; [unrolled: 2-line block ×3, first 2 shown]
	v_or_b32_e32 v10, v10, v13
	v_lshlrev_b32_e32 v13, 16, v17
	v_and_b32_e32 v12, 0xffff, v12
	v_or_b32_e32 v15, v16, v15
	v_add_co_u32 v18, vcc_lo, v18, v97
	v_or3_b32 v11, v14, v11, 0
	v_or3_b32 v10, 0, 0, v10
	;; [unrolled: 1-line block ×4, first 2 shown]
	v_sub_nc_u32_e32 v67, v67, v82
	v_add_co_ci_u32_e32 v19, vcc_lo, v19, v98, vcc_lo
	v_add_co_u32 v20, vcc_lo, v20, v97
	v_add_co_ci_u32_e32 v21, vcc_lo, v21, v98, vcc_lo
	global_store_b128 v[22:23], v[10:13], off glc slc dlc
	v_cmp_gt_i32_e32 vcc_lo, 16, v67
	v_add_co_u32 v22, s10, v22, v97
	s_delay_alu instid0(VALU_DEP_1) | instskip(SKIP_2) | instid1(SALU_CYCLE_1)
	v_add_co_ci_u32_e64 v23, s10, v23, v98, s10
	v_sub_nc_u32_e32 v66, v66, v70
	s_or_b32 s26, vcc_lo, s26
	s_and_not1_b32 exec_lo, exec_lo, s26
	s_cbranch_execz .LBB4_1037
.LBB4_943:                              ;   Parent Loop BB4_657 Depth=1
                                        ; =>  This Inner Loop Header: Depth=2
	global_load_b128 v[14:17], v[18:19], off slc dlc
	global_load_b128 v[10:13], v[20:21], off slc dlc
	s_mov_b32 s12, -1
	s_and_b32 vcc_lo, exec_lo, s27
	s_waitcnt vmcnt(1)
	v_and_b32_e32 v68, 0x7fff, v14
	s_waitcnt vmcnt(0)
	v_and_b32_e32 v69, 0x7fff, v10
	v_perm_b32 v103, v10, v14, 0x5040100
	s_delay_alu instid0(VALU_DEP_3) | instskip(NEXT) | instid1(VALU_DEP_3)
	v_cmp_lt_u16_e64 s10, 0x7c00, v68
	v_cmp_gt_u16_e64 s11, 0x7c01, v69
                                        ; implicit-def: $vgpr68
	s_delay_alu instid0(VALU_DEP_1) | instskip(NEXT) | instid1(SALU_CYCLE_1)
	s_and_b32 s28, s10, s11
	s_xor_b32 s28, s28, -1
	s_cbranch_vccz .LBB4_949
; %bb.944:                              ;   in Loop: Header=BB4_943 Depth=2
	v_mov_b32_e32 v68, v10
	s_and_saveexec_b32 s29, s28
	s_cbranch_execz .LBB4_948
; %bb.945:                              ;   in Loop: Header=BB4_943 Depth=2
	v_mov_b32_e32 v68, v14
	s_or_b32 s12, s10, s11
	s_delay_alu instid0(SALU_CYCLE_1)
	s_and_saveexec_b32 vcc_hi, s12
; %bb.946:                              ;   in Loop: Header=BB4_943 Depth=2
	v_lshrrev_b32_e32 v68, 16, v103
	v_cmp_lt_u16_e32 vcc_lo, 0x7c00, v69
	s_delay_alu instid0(VALU_DEP_2) | instskip(NEXT) | instid1(VALU_DEP_1)
	v_cmp_gt_f16_e64 s12, v103, v68
	v_cndmask_b32_e64 v68, v68, v103, s12
	s_and_b32 s12, s10, vcc_lo
	s_delay_alu instid0(VALU_DEP_1) | instid1(SALU_CYCLE_1)
	v_cndmask_b32_e64 v68, v68, 0x7fff, s12
; %bb.947:                              ;   in Loop: Header=BB4_943 Depth=2
	s_or_b32 exec_lo, exec_lo, vcc_hi
.LBB4_948:                              ;   in Loop: Header=BB4_943 Depth=2
	s_delay_alu instid0(SALU_CYCLE_1)
	s_or_b32 exec_lo, exec_lo, s29
	s_mov_b32 s12, 0
.LBB4_949:                              ;   in Loop: Header=BB4_943 Depth=2
	s_delay_alu instid0(SALU_CYCLE_1)
	s_and_not1_b32 vcc_lo, exec_lo, s12
	s_cbranch_vccnz .LBB4_955
; %bb.950:                              ;   in Loop: Header=BB4_943 Depth=2
	v_mov_b32_e32 v68, v10
	s_and_saveexec_b32 s12, s28
	s_cbranch_execz .LBB4_954
; %bb.951:                              ;   in Loop: Header=BB4_943 Depth=2
	v_mov_b32_e32 v68, v14
	s_or_b32 s11, s10, s11
	s_delay_alu instid0(SALU_CYCLE_1)
	s_and_saveexec_b32 s28, s11
; %bb.952:                              ;   in Loop: Header=BB4_943 Depth=2
	v_lshrrev_b32_e32 v68, 16, v103
	v_cmp_lt_u16_e32 vcc_lo, 0x7c00, v69
	s_delay_alu instid0(VALU_DEP_2) | instskip(SKIP_1) | instid1(VALU_DEP_1)
	v_cmp_gt_f16_e64 s11, v103, v68
	s_and_b32 s10, s10, vcc_lo
	v_cndmask_b32_e64 v68, v103, v68, s11
	s_delay_alu instid0(VALU_DEP_1)
	v_cndmask_b32_e64 v68, v68, 0x7fff, s10
; %bb.953:                              ;   in Loop: Header=BB4_943 Depth=2
	s_or_b32 exec_lo, exec_lo, s28
.LBB4_954:                              ;   in Loop: Header=BB4_943 Depth=2
	s_delay_alu instid0(SALU_CYCLE_1)
	s_or_b32 exec_lo, exec_lo, s12
.LBB4_955:                              ;   in Loop: Header=BB4_943 Depth=2
	v_mov_b32_e32 v113, v14
	v_mov_b32_e32 v114, v10
	;; [unrolled: 1-line block ×4, first 2 shown]
	s_mov_b32 s12, -1
	v_lshrrev_b32_e32 v69, 16, v113
	v_lshrrev_b32_e32 v112, 16, v114
	s_and_b32 vcc_lo, exec_lo, s27
	s_delay_alu instid0(VALU_DEP_2) | instskip(NEXT) | instid1(VALU_DEP_2)
	v_and_b32_e32 v10, 0x7fff, v69
	v_and_b32_e32 v103, 0x7fff, v112
	v_perm_b32 v11, v114, v113, 0x7060302
	s_delay_alu instid0(VALU_DEP_3) | instskip(NEXT) | instid1(VALU_DEP_3)
	v_cmp_lt_u16_e64 s10, 0x7c00, v10
	v_cmp_gt_u16_e64 s11, 0x7c01, v103
                                        ; implicit-def: $vgpr10
	s_delay_alu instid0(VALU_DEP_1) | instskip(NEXT) | instid1(SALU_CYCLE_1)
	s_and_b32 s28, s10, s11
	s_xor_b32 s28, s28, -1
	s_cbranch_vccz .LBB4_961
; %bb.956:                              ;   in Loop: Header=BB4_943 Depth=2
	v_mov_b32_e32 v10, v112
	s_and_saveexec_b32 s29, s28
	s_cbranch_execz .LBB4_960
; %bb.957:                              ;   in Loop: Header=BB4_943 Depth=2
	v_mov_b32_e32 v10, v69
	s_or_b32 s12, s10, s11
	s_delay_alu instid0(SALU_CYCLE_1)
	s_and_saveexec_b32 vcc_hi, s12
; %bb.958:                              ;   in Loop: Header=BB4_943 Depth=2
	v_lshrrev_b32_e32 v10, 16, v11
	v_cmp_lt_u16_e32 vcc_lo, 0x7c00, v103
	s_delay_alu instid0(VALU_DEP_2) | instskip(NEXT) | instid1(VALU_DEP_1)
	v_cmp_gt_f16_e64 s12, v11, v10
	v_cndmask_b32_e64 v10, v10, v11, s12
	s_and_b32 s12, s10, vcc_lo
	s_delay_alu instid0(VALU_DEP_1) | instid1(SALU_CYCLE_1)
	v_cndmask_b32_e64 v10, v10, 0x7fff, s12
; %bb.959:                              ;   in Loop: Header=BB4_943 Depth=2
	s_or_b32 exec_lo, exec_lo, vcc_hi
.LBB4_960:                              ;   in Loop: Header=BB4_943 Depth=2
	s_delay_alu instid0(SALU_CYCLE_1)
	s_or_b32 exec_lo, exec_lo, s29
	s_mov_b32 s12, 0
.LBB4_961:                              ;   in Loop: Header=BB4_943 Depth=2
	s_delay_alu instid0(SALU_CYCLE_1)
	s_and_not1_b32 vcc_lo, exec_lo, s12
	s_cbranch_vccnz .LBB4_967
; %bb.962:                              ;   in Loop: Header=BB4_943 Depth=2
	s_and_saveexec_b32 s12, s28
	s_cbranch_execz .LBB4_966
; %bb.963:                              ;   in Loop: Header=BB4_943 Depth=2
	s_or_b32 s11, s10, s11
	s_delay_alu instid0(SALU_CYCLE_1)
	s_and_saveexec_b32 s28, s11
; %bb.964:                              ;   in Loop: Header=BB4_943 Depth=2
	v_lshrrev_b32_e32 v10, 16, v11
	v_cmp_lt_u16_e32 vcc_lo, 0x7c00, v103
	s_delay_alu instid0(VALU_DEP_2) | instskip(SKIP_1) | instid1(VALU_DEP_1)
	v_cmp_gt_f16_e64 s11, v11, v10
	s_and_b32 s10, s10, vcc_lo
	v_cndmask_b32_e64 v10, v11, v10, s11
	s_delay_alu instid0(VALU_DEP_1)
	v_cndmask_b32_e64 v69, v10, 0x7fff, s10
; %bb.965:                              ;   in Loop: Header=BB4_943 Depth=2
	s_or_b32 exec_lo, exec_lo, s28
	s_delay_alu instid0(VALU_DEP_1)
	v_mov_b32_e32 v112, v69
.LBB4_966:                              ;   in Loop: Header=BB4_943 Depth=2
	s_or_b32 exec_lo, exec_lo, s12
	s_delay_alu instid0(VALU_DEP_1)
	v_mov_b32_e32 v10, v112
.LBB4_967:                              ;   in Loop: Header=BB4_943 Depth=2
	v_and_b32_e32 v11, 0x7fff, v14
	v_and_b32_e32 v69, 0x7fff, v15
	v_perm_b32 v103, v15, v14, 0x5040100
	s_mov_b32 s12, -1
	s_and_b32 vcc_lo, exec_lo, s27
	v_cmp_lt_u16_e64 s10, 0x7c00, v11
	v_cmp_gt_u16_e64 s11, 0x7c01, v69
                                        ; implicit-def: $vgpr11
	s_delay_alu instid0(VALU_DEP_1) | instskip(NEXT) | instid1(SALU_CYCLE_1)
	s_and_b32 s28, s10, s11
	s_xor_b32 s28, s28, -1
	s_cbranch_vccz .LBB4_973
; %bb.968:                              ;   in Loop: Header=BB4_943 Depth=2
	v_mov_b32_e32 v11, v15
	s_and_saveexec_b32 s29, s28
	s_cbranch_execz .LBB4_972
; %bb.969:                              ;   in Loop: Header=BB4_943 Depth=2
	v_mov_b32_e32 v11, v14
	s_or_b32 s12, s10, s11
	s_delay_alu instid0(SALU_CYCLE_1)
	s_and_saveexec_b32 vcc_hi, s12
; %bb.970:                              ;   in Loop: Header=BB4_943 Depth=2
	v_lshrrev_b32_e32 v11, 16, v103
	v_cmp_lt_u16_e32 vcc_lo, 0x7c00, v69
	s_delay_alu instid0(VALU_DEP_2) | instskip(NEXT) | instid1(VALU_DEP_1)
	v_cmp_gt_f16_e64 s12, v103, v11
	v_cndmask_b32_e64 v11, v11, v103, s12
	s_and_b32 s12, s10, vcc_lo
	s_delay_alu instid0(VALU_DEP_1) | instid1(SALU_CYCLE_1)
	v_cndmask_b32_e64 v11, v11, 0x7fff, s12
; %bb.971:                              ;   in Loop: Header=BB4_943 Depth=2
	s_or_b32 exec_lo, exec_lo, vcc_hi
.LBB4_972:                              ;   in Loop: Header=BB4_943 Depth=2
	s_delay_alu instid0(SALU_CYCLE_1)
	s_or_b32 exec_lo, exec_lo, s29
	s_mov_b32 s12, 0
.LBB4_973:                              ;   in Loop: Header=BB4_943 Depth=2
	s_delay_alu instid0(SALU_CYCLE_1)
	s_and_not1_b32 vcc_lo, exec_lo, s12
	s_cbranch_vccnz .LBB4_979
; %bb.974:                              ;   in Loop: Header=BB4_943 Depth=2
	v_mov_b32_e32 v11, v15
	s_and_saveexec_b32 s12, s28
	s_cbranch_execz .LBB4_978
; %bb.975:                              ;   in Loop: Header=BB4_943 Depth=2
	v_mov_b32_e32 v11, v14
	s_or_b32 s11, s10, s11
	s_delay_alu instid0(SALU_CYCLE_1)
	s_and_saveexec_b32 s28, s11
; %bb.976:                              ;   in Loop: Header=BB4_943 Depth=2
	v_lshrrev_b32_e32 v11, 16, v103
	v_cmp_lt_u16_e32 vcc_lo, 0x7c00, v69
	s_delay_alu instid0(VALU_DEP_2) | instskip(SKIP_1) | instid1(VALU_DEP_1)
	v_cmp_gt_f16_e64 s11, v103, v11
	s_and_b32 s10, s10, vcc_lo
	v_cndmask_b32_e64 v11, v103, v11, s11
	s_delay_alu instid0(VALU_DEP_1)
	v_cndmask_b32_e64 v11, v11, 0x7fff, s10
; %bb.977:                              ;   in Loop: Header=BB4_943 Depth=2
	s_or_b32 exec_lo, exec_lo, s28
.LBB4_978:                              ;   in Loop: Header=BB4_943 Depth=2
	s_delay_alu instid0(SALU_CYCLE_1)
	s_or_b32 exec_lo, exec_lo, s12
.LBB4_979:                              ;   in Loop: Header=BB4_943 Depth=2
	v_lshrrev_b32_e32 v69, 16, v14
	v_lshrrev_b32_e32 v112, 16, v15
	v_perm_b32 v15, v15, v14, 0x7060302
	s_mov_b32 s12, -1
	s_and_b32 vcc_lo, exec_lo, s27
	v_and_b32_e32 v113, 0x7fff, v69
	v_and_b32_e32 v103, 0x7fff, v112
                                        ; implicit-def: $vgpr14
	s_delay_alu instid0(VALU_DEP_2) | instskip(NEXT) | instid1(VALU_DEP_2)
	v_cmp_lt_u16_e64 s10, 0x7c00, v113
	v_cmp_gt_u16_e64 s11, 0x7c01, v103
	s_delay_alu instid0(VALU_DEP_1) | instskip(NEXT) | instid1(SALU_CYCLE_1)
	s_and_b32 s28, s10, s11
	s_xor_b32 s28, s28, -1
	s_cbranch_vccz .LBB4_985
; %bb.980:                              ;   in Loop: Header=BB4_943 Depth=2
	v_mov_b32_e32 v14, v112
	s_and_saveexec_b32 s29, s28
	s_cbranch_execz .LBB4_984
; %bb.981:                              ;   in Loop: Header=BB4_943 Depth=2
	v_mov_b32_e32 v14, v69
	s_or_b32 s12, s10, s11
	s_delay_alu instid0(SALU_CYCLE_1)
	s_and_saveexec_b32 vcc_hi, s12
; %bb.982:                              ;   in Loop: Header=BB4_943 Depth=2
	v_lshrrev_b32_e32 v14, 16, v15
	v_cmp_lt_u16_e32 vcc_lo, 0x7c00, v103
	s_delay_alu instid0(VALU_DEP_2) | instskip(NEXT) | instid1(VALU_DEP_1)
	v_cmp_gt_f16_e64 s12, v15, v14
	v_cndmask_b32_e64 v14, v14, v15, s12
	s_and_b32 s12, s10, vcc_lo
	s_delay_alu instid0(VALU_DEP_1) | instid1(SALU_CYCLE_1)
	v_cndmask_b32_e64 v14, v14, 0x7fff, s12
; %bb.983:                              ;   in Loop: Header=BB4_943 Depth=2
	s_or_b32 exec_lo, exec_lo, vcc_hi
.LBB4_984:                              ;   in Loop: Header=BB4_943 Depth=2
	s_delay_alu instid0(SALU_CYCLE_1)
	s_or_b32 exec_lo, exec_lo, s29
	s_mov_b32 s12, 0
.LBB4_985:                              ;   in Loop: Header=BB4_943 Depth=2
	s_delay_alu instid0(SALU_CYCLE_1)
	s_and_not1_b32 vcc_lo, exec_lo, s12
	s_cbranch_vccnz .LBB4_991
; %bb.986:                              ;   in Loop: Header=BB4_943 Depth=2
	s_and_saveexec_b32 s12, s28
	s_cbranch_execz .LBB4_990
; %bb.987:                              ;   in Loop: Header=BB4_943 Depth=2
	s_or_b32 s11, s10, s11
	s_delay_alu instid0(SALU_CYCLE_1)
	s_and_saveexec_b32 s28, s11
; %bb.988:                              ;   in Loop: Header=BB4_943 Depth=2
	v_lshrrev_b32_e32 v14, 16, v15
	v_cmp_lt_u16_e32 vcc_lo, 0x7c00, v103
	s_delay_alu instid0(VALU_DEP_2) | instskip(SKIP_1) | instid1(VALU_DEP_1)
	v_cmp_gt_f16_e64 s11, v15, v14
	s_and_b32 s10, s10, vcc_lo
	v_cndmask_b32_e64 v14, v15, v14, s11
	s_delay_alu instid0(VALU_DEP_1)
	v_cndmask_b32_e64 v69, v14, 0x7fff, s10
; %bb.989:                              ;   in Loop: Header=BB4_943 Depth=2
	s_or_b32 exec_lo, exec_lo, s28
	s_delay_alu instid0(VALU_DEP_1)
	v_mov_b32_e32 v112, v69
.LBB4_990:                              ;   in Loop: Header=BB4_943 Depth=2
	s_or_b32 exec_lo, exec_lo, s12
	s_delay_alu instid0(VALU_DEP_1)
	v_mov_b32_e32 v14, v112
.LBB4_991:                              ;   in Loop: Header=BB4_943 Depth=2
	v_and_b32_e32 v15, 0x7fff, v16
	v_and_b32_e32 v69, 0x7fff, v12
	v_perm_b32 v103, v12, v16, 0x5040100
	s_mov_b32 s12, -1
	s_and_b32 vcc_lo, exec_lo, s27
	v_cmp_lt_u16_e64 s10, 0x7c00, v15
	v_cmp_gt_u16_e64 s11, 0x7c01, v69
                                        ; implicit-def: $vgpr15
	s_delay_alu instid0(VALU_DEP_1) | instskip(NEXT) | instid1(SALU_CYCLE_1)
	s_and_b32 s28, s10, s11
	s_xor_b32 s28, s28, -1
	s_cbranch_vccz .LBB4_997
; %bb.992:                              ;   in Loop: Header=BB4_943 Depth=2
	v_mov_b32_e32 v15, v12
	s_and_saveexec_b32 s29, s28
	s_cbranch_execz .LBB4_996
; %bb.993:                              ;   in Loop: Header=BB4_943 Depth=2
	v_mov_b32_e32 v15, v16
	s_or_b32 s12, s10, s11
	s_delay_alu instid0(SALU_CYCLE_1)
	s_and_saveexec_b32 vcc_hi, s12
; %bb.994:                              ;   in Loop: Header=BB4_943 Depth=2
	v_lshrrev_b32_e32 v15, 16, v103
	v_cmp_lt_u16_e32 vcc_lo, 0x7c00, v69
	s_delay_alu instid0(VALU_DEP_2) | instskip(NEXT) | instid1(VALU_DEP_1)
	v_cmp_gt_f16_e64 s12, v103, v15
	v_cndmask_b32_e64 v15, v15, v103, s12
	s_and_b32 s12, s10, vcc_lo
	s_delay_alu instid0(VALU_DEP_1) | instid1(SALU_CYCLE_1)
	v_cndmask_b32_e64 v15, v15, 0x7fff, s12
; %bb.995:                              ;   in Loop: Header=BB4_943 Depth=2
	s_or_b32 exec_lo, exec_lo, vcc_hi
.LBB4_996:                              ;   in Loop: Header=BB4_943 Depth=2
	s_delay_alu instid0(SALU_CYCLE_1)
	s_or_b32 exec_lo, exec_lo, s29
	s_mov_b32 s12, 0
.LBB4_997:                              ;   in Loop: Header=BB4_943 Depth=2
	s_delay_alu instid0(SALU_CYCLE_1)
	s_and_not1_b32 vcc_lo, exec_lo, s12
	s_cbranch_vccnz .LBB4_1003
; %bb.998:                              ;   in Loop: Header=BB4_943 Depth=2
	v_mov_b32_e32 v15, v12
	s_and_saveexec_b32 s12, s28
	s_cbranch_execz .LBB4_1002
; %bb.999:                              ;   in Loop: Header=BB4_943 Depth=2
	v_mov_b32_e32 v15, v16
	s_or_b32 s11, s10, s11
	s_delay_alu instid0(SALU_CYCLE_1)
	s_and_saveexec_b32 s28, s11
; %bb.1000:                             ;   in Loop: Header=BB4_943 Depth=2
	v_lshrrev_b32_e32 v15, 16, v103
	v_cmp_lt_u16_e32 vcc_lo, 0x7c00, v69
	s_delay_alu instid0(VALU_DEP_2) | instskip(SKIP_1) | instid1(VALU_DEP_1)
	v_cmp_gt_f16_e64 s11, v103, v15
	s_and_b32 s10, s10, vcc_lo
	v_cndmask_b32_e64 v15, v103, v15, s11
	s_delay_alu instid0(VALU_DEP_1)
	v_cndmask_b32_e64 v15, v15, 0x7fff, s10
; %bb.1001:                             ;   in Loop: Header=BB4_943 Depth=2
	s_or_b32 exec_lo, exec_lo, s28
.LBB4_1002:                             ;   in Loop: Header=BB4_943 Depth=2
	s_delay_alu instid0(SALU_CYCLE_1)
	s_or_b32 exec_lo, exec_lo, s12
.LBB4_1003:                             ;   in Loop: Header=BB4_943 Depth=2
	v_mov_b32_e32 v113, v16
	v_lshrrev_b32_e32 v112, 16, v12
	s_mov_b32 s12, -1
	s_and_b32 vcc_lo, exec_lo, s27
	s_delay_alu instid0(VALU_DEP_2) | instskip(NEXT) | instid1(VALU_DEP_2)
	v_lshrrev_b32_e32 v69, 16, v113
	v_and_b32_e32 v103, 0x7fff, v112
	s_delay_alu instid0(VALU_DEP_2) | instskip(NEXT) | instid1(VALU_DEP_2)
	v_and_b32_e32 v16, 0x7fff, v69
	v_cmp_gt_u16_e64 s11, 0x7c01, v103
	v_perm_b32 v12, v12, v113, 0x7060302
	s_delay_alu instid0(VALU_DEP_3) | instskip(NEXT) | instid1(VALU_DEP_1)
	v_cmp_lt_u16_e64 s10, 0x7c00, v16
                                        ; implicit-def: $vgpr16
	s_and_b32 s28, s10, s11
	s_delay_alu instid0(SALU_CYCLE_1)
	s_xor_b32 s28, s28, -1
	s_cbranch_vccz .LBB4_1009
; %bb.1004:                             ;   in Loop: Header=BB4_943 Depth=2
	v_mov_b32_e32 v16, v112
	s_and_saveexec_b32 s29, s28
	s_cbranch_execz .LBB4_1008
; %bb.1005:                             ;   in Loop: Header=BB4_943 Depth=2
	v_mov_b32_e32 v16, v69
	s_or_b32 s12, s10, s11
	s_delay_alu instid0(SALU_CYCLE_1)
	s_and_saveexec_b32 vcc_hi, s12
; %bb.1006:                             ;   in Loop: Header=BB4_943 Depth=2
	v_lshrrev_b32_e32 v16, 16, v12
	v_cmp_lt_u16_e32 vcc_lo, 0x7c00, v103
	s_delay_alu instid0(VALU_DEP_2) | instskip(NEXT) | instid1(VALU_DEP_1)
	v_cmp_gt_f16_e64 s12, v12, v16
	v_cndmask_b32_e64 v16, v16, v12, s12
	s_and_b32 s12, s10, vcc_lo
	s_delay_alu instid0(VALU_DEP_1) | instid1(SALU_CYCLE_1)
	v_cndmask_b32_e64 v16, v16, 0x7fff, s12
; %bb.1007:                             ;   in Loop: Header=BB4_943 Depth=2
	s_or_b32 exec_lo, exec_lo, vcc_hi
.LBB4_1008:                             ;   in Loop: Header=BB4_943 Depth=2
	s_delay_alu instid0(SALU_CYCLE_1)
	s_or_b32 exec_lo, exec_lo, s29
	s_mov_b32 s12, 0
.LBB4_1009:                             ;   in Loop: Header=BB4_943 Depth=2
	s_delay_alu instid0(SALU_CYCLE_1)
	s_and_not1_b32 vcc_lo, exec_lo, s12
	s_cbranch_vccnz .LBB4_1015
; %bb.1010:                             ;   in Loop: Header=BB4_943 Depth=2
	s_and_saveexec_b32 s12, s28
	s_cbranch_execz .LBB4_1014
; %bb.1011:                             ;   in Loop: Header=BB4_943 Depth=2
	s_or_b32 s11, s10, s11
	s_delay_alu instid0(SALU_CYCLE_1)
	s_and_saveexec_b32 s28, s11
; %bb.1012:                             ;   in Loop: Header=BB4_943 Depth=2
	v_lshrrev_b32_e32 v16, 16, v12
	v_cmp_lt_u16_e32 vcc_lo, 0x7c00, v103
	s_delay_alu instid0(VALU_DEP_2) | instskip(SKIP_1) | instid1(VALU_DEP_1)
	v_cmp_gt_f16_e64 s11, v12, v16
	s_and_b32 s10, s10, vcc_lo
	v_cndmask_b32_e64 v12, v12, v16, s11
	s_delay_alu instid0(VALU_DEP_1)
	v_cndmask_b32_e64 v69, v12, 0x7fff, s10
; %bb.1013:                             ;   in Loop: Header=BB4_943 Depth=2
	s_or_b32 exec_lo, exec_lo, s28
	s_delay_alu instid0(VALU_DEP_1)
	v_mov_b32_e32 v112, v69
.LBB4_1014:                             ;   in Loop: Header=BB4_943 Depth=2
	s_or_b32 exec_lo, exec_lo, s12
	s_delay_alu instid0(VALU_DEP_1)
	v_mov_b32_e32 v16, v112
.LBB4_1015:                             ;   in Loop: Header=BB4_943 Depth=2
	v_and_b32_e32 v12, 0x7fff, v17
	v_and_b32_e32 v69, 0x7fff, v13
	v_perm_b32 v103, v13, v17, 0x5040100
	s_mov_b32 s12, -1
	s_and_b32 vcc_lo, exec_lo, s27
	v_cmp_lt_u16_e64 s10, 0x7c00, v12
	v_cmp_gt_u16_e64 s11, 0x7c01, v69
                                        ; implicit-def: $vgpr12
	s_delay_alu instid0(VALU_DEP_1) | instskip(NEXT) | instid1(SALU_CYCLE_1)
	s_and_b32 s28, s10, s11
	s_xor_b32 s28, s28, -1
	s_cbranch_vccz .LBB4_1021
; %bb.1016:                             ;   in Loop: Header=BB4_943 Depth=2
	v_mov_b32_e32 v12, v13
	s_and_saveexec_b32 s29, s28
	s_cbranch_execz .LBB4_1020
; %bb.1017:                             ;   in Loop: Header=BB4_943 Depth=2
	v_mov_b32_e32 v12, v17
	s_or_b32 s12, s10, s11
	s_delay_alu instid0(SALU_CYCLE_1)
	s_and_saveexec_b32 vcc_hi, s12
; %bb.1018:                             ;   in Loop: Header=BB4_943 Depth=2
	v_lshrrev_b32_e32 v12, 16, v103
	v_cmp_lt_u16_e32 vcc_lo, 0x7c00, v69
	s_delay_alu instid0(VALU_DEP_2) | instskip(NEXT) | instid1(VALU_DEP_1)
	v_cmp_gt_f16_e64 s12, v103, v12
	v_cndmask_b32_e64 v12, v12, v103, s12
	s_and_b32 s12, s10, vcc_lo
	s_delay_alu instid0(VALU_DEP_1) | instid1(SALU_CYCLE_1)
	v_cndmask_b32_e64 v12, v12, 0x7fff, s12
; %bb.1019:                             ;   in Loop: Header=BB4_943 Depth=2
	s_or_b32 exec_lo, exec_lo, vcc_hi
.LBB4_1020:                             ;   in Loop: Header=BB4_943 Depth=2
	s_delay_alu instid0(SALU_CYCLE_1)
	s_or_b32 exec_lo, exec_lo, s29
	s_mov_b32 s12, 0
.LBB4_1021:                             ;   in Loop: Header=BB4_943 Depth=2
	s_delay_alu instid0(SALU_CYCLE_1)
	s_and_not1_b32 vcc_lo, exec_lo, s12
	s_cbranch_vccnz .LBB4_1027
; %bb.1022:                             ;   in Loop: Header=BB4_943 Depth=2
	v_mov_b32_e32 v12, v13
	s_and_saveexec_b32 s12, s28
	s_cbranch_execz .LBB4_1026
; %bb.1023:                             ;   in Loop: Header=BB4_943 Depth=2
	v_mov_b32_e32 v12, v17
	s_or_b32 s11, s10, s11
	s_delay_alu instid0(SALU_CYCLE_1)
	s_and_saveexec_b32 s28, s11
; %bb.1024:                             ;   in Loop: Header=BB4_943 Depth=2
	v_lshrrev_b32_e32 v12, 16, v103
	v_cmp_lt_u16_e32 vcc_lo, 0x7c00, v69
	s_delay_alu instid0(VALU_DEP_2) | instskip(SKIP_1) | instid1(VALU_DEP_1)
	v_cmp_gt_f16_e64 s11, v103, v12
	s_and_b32 s10, s10, vcc_lo
	v_cndmask_b32_e64 v12, v103, v12, s11
	s_delay_alu instid0(VALU_DEP_1)
	v_cndmask_b32_e64 v12, v12, 0x7fff, s10
; %bb.1025:                             ;   in Loop: Header=BB4_943 Depth=2
	s_or_b32 exec_lo, exec_lo, s28
.LBB4_1026:                             ;   in Loop: Header=BB4_943 Depth=2
	s_delay_alu instid0(SALU_CYCLE_1)
	s_or_b32 exec_lo, exec_lo, s12
.LBB4_1027:                             ;   in Loop: Header=BB4_943 Depth=2
	v_lshrrev_b32_e32 v69, 16, v17
	v_lshrrev_b32_e32 v112, 16, v13
	v_perm_b32 v13, v13, v17, 0x7060302
	s_mov_b32 s12, -1
	s_and_b32 vcc_lo, exec_lo, s27
	v_and_b32_e32 v113, 0x7fff, v69
	v_and_b32_e32 v103, 0x7fff, v112
                                        ; implicit-def: $vgpr17
	s_delay_alu instid0(VALU_DEP_2) | instskip(NEXT) | instid1(VALU_DEP_2)
	v_cmp_lt_u16_e64 s10, 0x7c00, v113
	v_cmp_gt_u16_e64 s11, 0x7c01, v103
	s_delay_alu instid0(VALU_DEP_1) | instskip(NEXT) | instid1(SALU_CYCLE_1)
	s_and_b32 s28, s10, s11
	s_xor_b32 s28, s28, -1
	s_cbranch_vccz .LBB4_1033
; %bb.1028:                             ;   in Loop: Header=BB4_943 Depth=2
	v_mov_b32_e32 v17, v112
	s_and_saveexec_b32 s29, s28
	s_cbranch_execz .LBB4_1032
; %bb.1029:                             ;   in Loop: Header=BB4_943 Depth=2
	v_mov_b32_e32 v17, v69
	s_or_b32 s12, s10, s11
	s_delay_alu instid0(SALU_CYCLE_1)
	s_and_saveexec_b32 vcc_hi, s12
; %bb.1030:                             ;   in Loop: Header=BB4_943 Depth=2
	v_lshrrev_b32_e32 v17, 16, v13
	v_cmp_lt_u16_e32 vcc_lo, 0x7c00, v103
	s_delay_alu instid0(VALU_DEP_2) | instskip(NEXT) | instid1(VALU_DEP_1)
	v_cmp_gt_f16_e64 s12, v13, v17
	v_cndmask_b32_e64 v17, v17, v13, s12
	s_and_b32 s12, s10, vcc_lo
	s_delay_alu instid0(VALU_DEP_1) | instid1(SALU_CYCLE_1)
	v_cndmask_b32_e64 v17, v17, 0x7fff, s12
; %bb.1031:                             ;   in Loop: Header=BB4_943 Depth=2
	s_or_b32 exec_lo, exec_lo, vcc_hi
.LBB4_1032:                             ;   in Loop: Header=BB4_943 Depth=2
	s_delay_alu instid0(SALU_CYCLE_1)
	s_or_b32 exec_lo, exec_lo, s29
	s_mov_b32 s12, 0
.LBB4_1033:                             ;   in Loop: Header=BB4_943 Depth=2
	s_delay_alu instid0(SALU_CYCLE_1)
	s_and_not1_b32 vcc_lo, exec_lo, s12
	s_cbranch_vccnz .LBB4_942
; %bb.1034:                             ;   in Loop: Header=BB4_943 Depth=2
	s_and_saveexec_b32 s12, s28
	s_cbranch_execz .LBB4_941
; %bb.1035:                             ;   in Loop: Header=BB4_943 Depth=2
	s_or_b32 s11, s10, s11
	s_delay_alu instid0(SALU_CYCLE_1)
	s_and_saveexec_b32 s28, s11
	s_cbranch_execz .LBB4_940
; %bb.1036:                             ;   in Loop: Header=BB4_943 Depth=2
	v_lshrrev_b32_e32 v17, 16, v13
	v_cmp_lt_u16_e32 vcc_lo, 0x7c00, v103
	s_delay_alu instid0(VALU_DEP_2) | instskip(SKIP_1) | instid1(VALU_DEP_1)
	v_cmp_gt_f16_e64 s11, v13, v17
	s_and_b32 s10, s10, vcc_lo
	v_cndmask_b32_e64 v13, v13, v17, s11
	s_delay_alu instid0(VALU_DEP_1)
	v_cndmask_b32_e64 v69, v13, 0x7fff, s10
	s_branch .LBB4_940
.LBB4_1037:                             ;   in Loop: Header=BB4_657 Depth=1
	s_or_b32 exec_lo, exec_lo, s26
.LBB4_1038:                             ;   in Loop: Header=BB4_657 Depth=1
	s_delay_alu instid0(SALU_CYCLE_1) | instskip(SKIP_3) | instid1(VALU_DEP_1)
	s_or_b32 exec_lo, exec_lo, s25
	v_dual_mov_b32 v16, 0 :: v_dual_and_b32 v11, 14, v102
	s_mov_b32 s10, 0
	s_mov_b32 s11, exec_lo
                                        ; implicit-def: $vgpr17
                                        ; implicit-def: $vgpr10
	v_cndmask_b32_e64 v102, v65, v11, s7
	s_delay_alu instid0(VALU_DEP_1)
	v_cmpx_ne_u32_e32 0, v102
	s_cbranch_execz .LBB4_1040
; %bb.1039:                             ;   in Loop: Header=BB4_657 Depth=1
	v_cmp_lt_i32_e32 vcc_lo, 0, v66
	v_sub_nc_u32_e32 v11, v65, v11
	s_mov_b32 s10, exec_lo
	v_cndmask_b32_e32 v10, 0, v70, vcc_lo
	s_delay_alu instid0(VALU_DEP_2) | instskip(NEXT) | instid1(VALU_DEP_2)
	v_cndmask_b32_e64 v11, 0, v11, s7
	v_sub_nc_u32_e32 v10, v10, v66
	s_delay_alu instid0(VALU_DEP_2) | instskip(NEXT) | instid1(VALU_DEP_2)
	v_add3_u32 v16, v25, v24, v11
	v_lshl_add_u32 v17, v10, 5, v64
	s_delay_alu instid0(VALU_DEP_1) | instskip(NEXT) | instid1(VALU_DEP_1)
	v_ashrrev_i32_e32 v10, 31, v17
	v_lshrrev_b32_e32 v10, 27, v10
	s_delay_alu instid0(VALU_DEP_1) | instskip(NEXT) | instid1(VALU_DEP_1)
	v_add_nc_u32_e32 v10, v17, v10
	v_ashrrev_i32_e32 v10, 5, v10
.LBB4_1040:                             ;   in Loop: Header=BB4_657 Depth=1
	s_or_b32 exec_lo, exec_lo, s11
	s_delay_alu instid0(SALU_CYCLE_1)
	s_and_b32 s7, s10, exec_lo
.LBB4_1041:                             ;   in Loop: Header=BB4_657 Depth=1
	s_or_b32 exec_lo, exec_lo, s24
.LBB4_1042:                             ;   in Loop: Header=BB4_657 Depth=1
	s_and_saveexec_b32 s12, s7
	s_cbranch_execz .LBB4_1161
; %bb.1043:                             ;   in Loop: Header=BB4_657 Depth=1
	v_ashrrev_i32_e32 v11, 31, v102
	s_mov_b32 s24, exec_lo
	s_delay_alu instid0(VALU_DEP_1) | instskip(NEXT) | instid1(VALU_DEP_1)
	v_lshrrev_b32_e32 v11, 23, v11
	v_add_nc_u32_e32 v11, v102, v11
	s_delay_alu instid0(VALU_DEP_1) | instskip(NEXT) | instid1(VALU_DEP_1)
	v_ashrrev_i32_e32 v19, 9, v11
	v_sub_nc_u32_e32 v18, v19, v10
	s_delay_alu instid0(VALU_DEP_1)
	v_cmpx_lt_i32_e32 0, v18
	s_cbranch_execz .LBB4_1144
; %bb.1044:                             ;   in Loop: Header=BB4_657 Depth=1
	s_cbranch_execnz .LBB4_1678
; %bb.1045:                             ;   in Loop: Header=BB4_657 Depth=1
	v_ashrrev_i32_e32 v11, 31, v17
	ds_load_b64 v[20:21], v0
	v_lshlrev_b32_e32 v10, 9, v10
	s_bitcmp1_b32 s23, 0
	s_mov_b32 s26, 0
	v_lshrrev_b32_e32 v11, 27, v11
	s_cselect_b32 s25, -1, 0
	s_delay_alu instid0(VALU_DEP_1) | instskip(NEXT) | instid1(VALU_DEP_1)
	v_add_nc_u32_e32 v11, v17, v11
	v_and_b32_e32 v11, 0x7fffffe0, v11
	s_delay_alu instid0(VALU_DEP_1)
	v_sub_nc_u32_e32 v15, v17, v11
	ds_load_b128 v[11:14], v0
	s_waitcnt lgkmcnt(1)
	v_add_co_u32 v20, vcc_lo, 0x1c0, v20
	v_add_co_ci_u32_e32 v21, vcc_lo, 0, v21, vcc_lo
	v_lshlrev_b32_e32 v15, 1, v15
	s_delay_alu instid0(VALU_DEP_1) | instskip(NEXT) | instid1(VALU_DEP_1)
	v_add3_u32 v15, v15, v16, v10
	v_ashrrev_i32_e32 v22, 31, v15
	s_waitcnt lgkmcnt(0)
	v_add_co_u32 v10, vcc_lo, v11, v15
	s_delay_alu instid0(VALU_DEP_2)
	v_add_co_ci_u32_e32 v11, vcc_lo, v12, v22, vcc_lo
	v_add_co_u32 v12, vcc_lo, v13, v15
	v_add_co_ci_u32_e32 v13, vcc_lo, v14, v22, vcc_lo
	v_add_co_u32 v14, vcc_lo, v20, v15
	v_add_co_ci_u32_e32 v15, vcc_lo, v21, v22, vcc_lo
	s_branch .LBB4_1049
.LBB4_1046:                             ;   in Loop: Header=BB4_1049 Depth=2
	s_or_b32 exec_lo, exec_lo, s27
	s_delay_alu instid0(VALU_DEP_1)
	v_mov_b32_e32 v21, v20
.LBB4_1047:                             ;   in Loop: Header=BB4_1049 Depth=2
	s_or_b32 exec_lo, exec_lo, s11
	s_delay_alu instid0(VALU_DEP_1)
	v_mov_b32_e32 v23, v21
.LBB4_1048:                             ;   in Loop: Header=BB4_1049 Depth=2
	v_add_co_u32 v20, vcc_lo, 0xfffffe40, v14
	v_add_co_ci_u32_e32 v21, vcc_lo, -1, v15, vcc_lo
	v_add_co_u32 v112, vcc_lo, 0xfffffe80, v14
	v_add_co_ci_u32_e32 v113, vcc_lo, -1, v15, vcc_lo
	v_sub_nc_u32_e32 v18, v18, v70
	flat_store_b16 v[20:21], v22 glc slc dlc
	flat_store_b16 v[112:113], v25 glc slc dlc
	v_add_co_u32 v20, vcc_lo, 0xfffffec0, v14
	v_add_co_ci_u32_e32 v21, vcc_lo, -1, v15, vcc_lo
	v_add_co_u32 v24, vcc_lo, 0xffffff00, v14
	v_add_co_ci_u32_e32 v25, vcc_lo, -1, v15, vcc_lo
	v_add_co_u32 v112, vcc_lo, 0xffffff40, v14
	v_add_co_ci_u32_e32 v113, vcc_lo, -1, v15, vcc_lo
	v_add_co_u32 v114, vcc_lo, 0xffffff80, v14
	v_add_co_ci_u32_e32 v115, vcc_lo, -1, v15, vcc_lo
	v_add_co_u32 v116, vcc_lo, 0xffffffc0, v14
	v_add_co_ci_u32_e32 v117, vcc_lo, -1, v15, vcc_lo
	v_add_co_u32 v10, vcc_lo, v10, v97
	v_add_co_ci_u32_e32 v11, vcc_lo, v11, v98, vcc_lo
	v_add_co_u32 v12, vcc_lo, v12, v97
	v_add_co_ci_u32_e32 v13, vcc_lo, v13, v98, vcc_lo
	flat_store_b16 v[20:21], v66 glc slc dlc
	flat_store_b16 v[24:25], v69 glc slc dlc
	;; [unrolled: 1-line block ×6, first 2 shown]
	v_cmp_gt_i32_e32 vcc_lo, 1, v18
	v_add_co_u32 v14, s7, v14, v97
	s_delay_alu instid0(VALU_DEP_1) | instskip(SKIP_1) | instid1(SALU_CYCLE_1)
	v_add_co_ci_u32_e64 v15, s7, v15, v98, s7
	s_or_b32 s26, vcc_lo, s26
	s_and_not1_b32 exec_lo, exec_lo, s26
	s_cbranch_execz .LBB4_1143
.LBB4_1049:                             ;   Parent Loop BB4_657 Depth=1
                                        ; =>  This Inner Loop Header: Depth=2
	flat_load_u16 v25, v[10:11] slc dlc
	flat_load_u16 v115, v[12:13] slc dlc
	s_clause 0x6
	flat_load_u16 v66, v[10:11] offset:64 slc dlc
	flat_load_u16 v69, v[10:11] offset:128 slc dlc
	;; [unrolled: 1-line block ×7, first 2 shown]
	s_clause 0x6
	flat_load_u16 v114, v[12:13] offset:64 slc dlc
	flat_load_u16 v113, v[12:13] offset:128 slc dlc
	;; [unrolled: 1-line block ×7, first 2 shown]
	s_mov_b32 s11, -1
	s_and_b32 vcc_lo, exec_lo, s25
	s_waitcnt vmcnt(15) lgkmcnt(15)
	v_and_b32_e32 v22, 0x7fff, v25
	s_waitcnt vmcnt(14) lgkmcnt(14)
	v_and_b32_e32 v116, 0x7fff, v115
	s_delay_alu instid0(VALU_DEP_2) | instskip(NEXT) | instid1(VALU_DEP_2)
	v_cmp_lt_u16_e64 s7, 0x7c00, v22
	v_cmp_gt_u16_e64 s10, 0x7c01, v116
                                        ; implicit-def: $vgpr22
	s_delay_alu instid0(VALU_DEP_1) | instskip(NEXT) | instid1(SALU_CYCLE_1)
	s_and_b32 s27, s7, s10
	s_xor_b32 s27, s27, -1
	s_cbranch_vccz .LBB4_1055
; %bb.1050:                             ;   in Loop: Header=BB4_1049 Depth=2
	v_mov_b32_e32 v22, v115
	s_and_saveexec_b32 s28, s27
	s_cbranch_execz .LBB4_1054
; %bb.1051:                             ;   in Loop: Header=BB4_1049 Depth=2
	v_mov_b32_e32 v22, v25
	s_or_b32 s11, s7, s10
	s_delay_alu instid0(SALU_CYCLE_1)
	s_and_saveexec_b32 s29, s11
; %bb.1052:                             ;   in Loop: Header=BB4_1049 Depth=2
	v_cmp_gt_f16_e64 s11, v25, v115
	v_cmp_lt_u16_e32 vcc_lo, 0x7c00, v116
	s_delay_alu instid0(VALU_DEP_2)
	v_cndmask_b32_e64 v22, v115, v25, s11
	s_and_b32 s11, s7, vcc_lo
	s_delay_alu instid0(VALU_DEP_1) | instid1(SALU_CYCLE_1)
	v_cndmask_b32_e64 v22, v22, 0x7fff, s11
; %bb.1053:                             ;   in Loop: Header=BB4_1049 Depth=2
	s_or_b32 exec_lo, exec_lo, s29
.LBB4_1054:                             ;   in Loop: Header=BB4_1049 Depth=2
	s_delay_alu instid0(SALU_CYCLE_1)
	s_or_b32 exec_lo, exec_lo, s28
	s_mov_b32 s11, 0
.LBB4_1055:                             ;   in Loop: Header=BB4_1049 Depth=2
	s_delay_alu instid0(SALU_CYCLE_1)
	s_and_not1_b32 vcc_lo, exec_lo, s11
	s_cbranch_vccnz .LBB4_1061
; %bb.1056:                             ;   in Loop: Header=BB4_1049 Depth=2
	s_and_saveexec_b32 s11, s27
	s_cbranch_execz .LBB4_1060
; %bb.1057:                             ;   in Loop: Header=BB4_1049 Depth=2
	s_or_b32 s10, s7, s10
	s_delay_alu instid0(SALU_CYCLE_1)
	s_and_saveexec_b32 s27, s10
; %bb.1058:                             ;   in Loop: Header=BB4_1049 Depth=2
	v_cmp_gt_f16_e64 s10, v25, v115
	v_cmp_lt_u16_e32 vcc_lo, 0x7c00, v116
	s_delay_alu instid0(VALU_DEP_2)
	v_cndmask_b32_e64 v22, v25, v115, s10
	s_and_b32 s7, s7, vcc_lo
	s_delay_alu instid0(VALU_DEP_1) | instid1(SALU_CYCLE_1)
	v_cndmask_b32_e64 v25, v22, 0x7fff, s7
; %bb.1059:                             ;   in Loop: Header=BB4_1049 Depth=2
	s_or_b32 exec_lo, exec_lo, s27
	s_delay_alu instid0(VALU_DEP_1)
	v_mov_b32_e32 v115, v25
.LBB4_1060:                             ;   in Loop: Header=BB4_1049 Depth=2
	s_or_b32 exec_lo, exec_lo, s11
	s_delay_alu instid0(VALU_DEP_1)
	v_mov_b32_e32 v22, v115
.LBB4_1061:                             ;   in Loop: Header=BB4_1049 Depth=2
	s_waitcnt vmcnt(13) lgkmcnt(13)
	v_and_b32_e32 v25, 0x7fff, v66
	s_waitcnt vmcnt(6) lgkmcnt(6)
	v_and_b32_e32 v115, 0x7fff, v114
	s_mov_b32 s11, -1
	s_and_not1_b32 vcc_lo, exec_lo, s25
	v_cmp_lt_u16_e64 s7, 0x7c00, v25
	s_delay_alu instid0(VALU_DEP_2) | instskip(NEXT) | instid1(VALU_DEP_1)
	v_cmp_gt_u16_e64 s10, 0x7c01, v115
                                        ; implicit-def: $vgpr25
	s_and_b32 s27, s7, s10
	s_delay_alu instid0(SALU_CYCLE_1)
	s_xor_b32 s27, s27, -1
	s_cbranch_vccnz .LBB4_1067
; %bb.1062:                             ;   in Loop: Header=BB4_1049 Depth=2
	v_mov_b32_e32 v25, v114
	s_and_saveexec_b32 s28, s27
	s_cbranch_execz .LBB4_1066
; %bb.1063:                             ;   in Loop: Header=BB4_1049 Depth=2
	v_mov_b32_e32 v25, v66
	s_or_b32 s11, s7, s10
	s_delay_alu instid0(SALU_CYCLE_1)
	s_and_saveexec_b32 s29, s11
; %bb.1064:                             ;   in Loop: Header=BB4_1049 Depth=2
	v_cmp_gt_f16_e64 s11, v66, v114
	v_cmp_lt_u16_e32 vcc_lo, 0x7c00, v115
	s_delay_alu instid0(VALU_DEP_2)
	v_cndmask_b32_e64 v25, v114, v66, s11
	s_and_b32 s11, s7, vcc_lo
	s_delay_alu instid0(VALU_DEP_1) | instid1(SALU_CYCLE_1)
	v_cndmask_b32_e64 v25, v25, 0x7fff, s11
; %bb.1065:                             ;   in Loop: Header=BB4_1049 Depth=2
	s_or_b32 exec_lo, exec_lo, s29
.LBB4_1066:                             ;   in Loop: Header=BB4_1049 Depth=2
	s_delay_alu instid0(SALU_CYCLE_1)
	s_or_b32 exec_lo, exec_lo, s28
	s_mov_b32 s11, 0
.LBB4_1067:                             ;   in Loop: Header=BB4_1049 Depth=2
	s_delay_alu instid0(SALU_CYCLE_1)
	s_and_not1_b32 vcc_lo, exec_lo, s11
	s_cbranch_vccnz .LBB4_1073
; %bb.1068:                             ;   in Loop: Header=BB4_1049 Depth=2
	s_and_saveexec_b32 s11, s27
	s_cbranch_execz .LBB4_1072
; %bb.1069:                             ;   in Loop: Header=BB4_1049 Depth=2
	s_or_b32 s10, s7, s10
	s_delay_alu instid0(SALU_CYCLE_1)
	s_and_saveexec_b32 s27, s10
; %bb.1070:                             ;   in Loop: Header=BB4_1049 Depth=2
	v_cmp_gt_f16_e64 s10, v66, v114
	v_cmp_lt_u16_e32 vcc_lo, 0x7c00, v115
	s_delay_alu instid0(VALU_DEP_2)
	v_cndmask_b32_e64 v25, v66, v114, s10
	s_and_b32 s7, s7, vcc_lo
	s_delay_alu instid0(VALU_DEP_1) | instid1(SALU_CYCLE_1)
	v_cndmask_b32_e64 v66, v25, 0x7fff, s7
; %bb.1071:                             ;   in Loop: Header=BB4_1049 Depth=2
	s_or_b32 exec_lo, exec_lo, s27
	s_delay_alu instid0(VALU_DEP_1)
	v_mov_b32_e32 v114, v66
.LBB4_1072:                             ;   in Loop: Header=BB4_1049 Depth=2
	s_or_b32 exec_lo, exec_lo, s11
	s_delay_alu instid0(VALU_DEP_1)
	v_mov_b32_e32 v25, v114
.LBB4_1073:                             ;   in Loop: Header=BB4_1049 Depth=2
	v_and_b32_e32 v66, 0x7fff, v69
	s_waitcnt vmcnt(5) lgkmcnt(5)
	v_and_b32_e32 v114, 0x7fff, v113
	s_mov_b32 s11, -1
	s_and_not1_b32 vcc_lo, exec_lo, s25
	v_cmp_lt_u16_e64 s7, 0x7c00, v66
	s_delay_alu instid0(VALU_DEP_2) | instskip(NEXT) | instid1(VALU_DEP_1)
	v_cmp_gt_u16_e64 s10, 0x7c01, v114
                                        ; implicit-def: $vgpr66
	s_and_b32 s27, s7, s10
	s_delay_alu instid0(SALU_CYCLE_1)
	s_xor_b32 s27, s27, -1
	s_cbranch_vccnz .LBB4_1079
; %bb.1074:                             ;   in Loop: Header=BB4_1049 Depth=2
	v_mov_b32_e32 v66, v113
	s_and_saveexec_b32 s28, s27
	s_cbranch_execz .LBB4_1078
; %bb.1075:                             ;   in Loop: Header=BB4_1049 Depth=2
	v_mov_b32_e32 v66, v69
	s_or_b32 s11, s7, s10
	s_delay_alu instid0(SALU_CYCLE_1)
	s_and_saveexec_b32 s29, s11
; %bb.1076:                             ;   in Loop: Header=BB4_1049 Depth=2
	v_cmp_gt_f16_e64 s11, v69, v113
	v_cmp_lt_u16_e32 vcc_lo, 0x7c00, v114
	s_delay_alu instid0(VALU_DEP_2)
	v_cndmask_b32_e64 v66, v113, v69, s11
	s_and_b32 s11, s7, vcc_lo
	s_delay_alu instid0(VALU_DEP_1) | instid1(SALU_CYCLE_1)
	v_cndmask_b32_e64 v66, v66, 0x7fff, s11
; %bb.1077:                             ;   in Loop: Header=BB4_1049 Depth=2
	s_or_b32 exec_lo, exec_lo, s29
.LBB4_1078:                             ;   in Loop: Header=BB4_1049 Depth=2
	s_delay_alu instid0(SALU_CYCLE_1)
	s_or_b32 exec_lo, exec_lo, s28
	s_mov_b32 s11, 0
.LBB4_1079:                             ;   in Loop: Header=BB4_1049 Depth=2
	s_delay_alu instid0(SALU_CYCLE_1)
	s_and_not1_b32 vcc_lo, exec_lo, s11
	s_cbranch_vccnz .LBB4_1085
; %bb.1080:                             ;   in Loop: Header=BB4_1049 Depth=2
	s_and_saveexec_b32 s11, s27
	s_cbranch_execz .LBB4_1084
; %bb.1081:                             ;   in Loop: Header=BB4_1049 Depth=2
	s_or_b32 s10, s7, s10
	s_delay_alu instid0(SALU_CYCLE_1)
	s_and_saveexec_b32 s27, s10
; %bb.1082:                             ;   in Loop: Header=BB4_1049 Depth=2
	v_cmp_gt_f16_e64 s10, v69, v113
	v_cmp_lt_u16_e32 vcc_lo, 0x7c00, v114
	s_delay_alu instid0(VALU_DEP_2)
	v_cndmask_b32_e64 v66, v69, v113, s10
	s_and_b32 s7, s7, vcc_lo
	s_delay_alu instid0(VALU_DEP_1) | instid1(SALU_CYCLE_1)
	v_cndmask_b32_e64 v69, v66, 0x7fff, s7
; %bb.1083:                             ;   in Loop: Header=BB4_1049 Depth=2
	s_or_b32 exec_lo, exec_lo, s27
	s_delay_alu instid0(VALU_DEP_1)
	v_mov_b32_e32 v113, v69
.LBB4_1084:                             ;   in Loop: Header=BB4_1049 Depth=2
	s_or_b32 exec_lo, exec_lo, s11
	s_delay_alu instid0(VALU_DEP_1)
	v_mov_b32_e32 v66, v113
.LBB4_1085:                             ;   in Loop: Header=BB4_1049 Depth=2
	v_and_b32_e32 v69, 0x7fff, v103
	s_waitcnt vmcnt(4) lgkmcnt(4)
	v_and_b32_e32 v113, 0x7fff, v112
	s_mov_b32 s11, -1
	s_and_not1_b32 vcc_lo, exec_lo, s25
	v_cmp_lt_u16_e64 s7, 0x7c00, v69
	s_delay_alu instid0(VALU_DEP_2) | instskip(NEXT) | instid1(VALU_DEP_1)
	v_cmp_gt_u16_e64 s10, 0x7c01, v113
                                        ; implicit-def: $vgpr69
	s_and_b32 s27, s7, s10
	s_delay_alu instid0(SALU_CYCLE_1)
	s_xor_b32 s27, s27, -1
	s_cbranch_vccnz .LBB4_1091
; %bb.1086:                             ;   in Loop: Header=BB4_1049 Depth=2
	v_mov_b32_e32 v69, v112
	s_and_saveexec_b32 s28, s27
	s_cbranch_execz .LBB4_1090
; %bb.1087:                             ;   in Loop: Header=BB4_1049 Depth=2
	v_mov_b32_e32 v69, v103
	s_or_b32 s11, s7, s10
	s_delay_alu instid0(SALU_CYCLE_1)
	s_and_saveexec_b32 s29, s11
; %bb.1088:                             ;   in Loop: Header=BB4_1049 Depth=2
	v_cmp_gt_f16_e64 s11, v103, v112
	v_cmp_lt_u16_e32 vcc_lo, 0x7c00, v113
	s_delay_alu instid0(VALU_DEP_2)
	v_cndmask_b32_e64 v69, v112, v103, s11
	s_and_b32 s11, s7, vcc_lo
	s_delay_alu instid0(VALU_DEP_1) | instid1(SALU_CYCLE_1)
	v_cndmask_b32_e64 v69, v69, 0x7fff, s11
; %bb.1089:                             ;   in Loop: Header=BB4_1049 Depth=2
	s_or_b32 exec_lo, exec_lo, s29
.LBB4_1090:                             ;   in Loop: Header=BB4_1049 Depth=2
	s_delay_alu instid0(SALU_CYCLE_1)
	s_or_b32 exec_lo, exec_lo, s28
	s_mov_b32 s11, 0
.LBB4_1091:                             ;   in Loop: Header=BB4_1049 Depth=2
	s_delay_alu instid0(SALU_CYCLE_1)
	s_and_not1_b32 vcc_lo, exec_lo, s11
	s_cbranch_vccnz .LBB4_1097
; %bb.1092:                             ;   in Loop: Header=BB4_1049 Depth=2
	s_and_saveexec_b32 s11, s27
	s_cbranch_execz .LBB4_1096
; %bb.1093:                             ;   in Loop: Header=BB4_1049 Depth=2
	s_or_b32 s10, s7, s10
	s_delay_alu instid0(SALU_CYCLE_1)
	s_and_saveexec_b32 s27, s10
; %bb.1094:                             ;   in Loop: Header=BB4_1049 Depth=2
	v_cmp_gt_f16_e64 s10, v103, v112
	v_cmp_lt_u16_e32 vcc_lo, 0x7c00, v113
	s_delay_alu instid0(VALU_DEP_2)
	v_cndmask_b32_e64 v69, v103, v112, s10
	s_and_b32 s7, s7, vcc_lo
	s_delay_alu instid0(VALU_DEP_1) | instid1(SALU_CYCLE_1)
	v_cndmask_b32_e64 v103, v69, 0x7fff, s7
; %bb.1095:                             ;   in Loop: Header=BB4_1049 Depth=2
	s_or_b32 exec_lo, exec_lo, s27
	s_delay_alu instid0(VALU_DEP_1)
	v_mov_b32_e32 v112, v103
.LBB4_1096:                             ;   in Loop: Header=BB4_1049 Depth=2
	s_or_b32 exec_lo, exec_lo, s11
	s_delay_alu instid0(VALU_DEP_1)
	v_mov_b32_e32 v69, v112
.LBB4_1097:                             ;   in Loop: Header=BB4_1049 Depth=2
	v_and_b32_e32 v103, 0x7fff, v67
	s_waitcnt vmcnt(3) lgkmcnt(3)
	v_and_b32_e32 v112, 0x7fff, v68
	s_mov_b32 s11, -1
	s_and_not1_b32 vcc_lo, exec_lo, s25
	v_cmp_lt_u16_e64 s7, 0x7c00, v103
	s_delay_alu instid0(VALU_DEP_2) | instskip(NEXT) | instid1(VALU_DEP_1)
	v_cmp_gt_u16_e64 s10, 0x7c01, v112
                                        ; implicit-def: $vgpr103
	s_and_b32 s27, s7, s10
	s_delay_alu instid0(SALU_CYCLE_1)
	s_xor_b32 s27, s27, -1
	s_cbranch_vccnz .LBB4_1103
; %bb.1098:                             ;   in Loop: Header=BB4_1049 Depth=2
	v_mov_b32_e32 v103, v68
	s_and_saveexec_b32 s28, s27
	s_cbranch_execz .LBB4_1102
; %bb.1099:                             ;   in Loop: Header=BB4_1049 Depth=2
	v_mov_b32_e32 v103, v67
	s_or_b32 s11, s7, s10
	s_delay_alu instid0(SALU_CYCLE_1)
	s_and_saveexec_b32 s29, s11
; %bb.1100:                             ;   in Loop: Header=BB4_1049 Depth=2
	v_cmp_gt_f16_e64 s11, v67, v68
	v_cmp_lt_u16_e32 vcc_lo, 0x7c00, v112
	s_delay_alu instid0(VALU_DEP_2)
	v_cndmask_b32_e64 v103, v68, v67, s11
	s_and_b32 s11, s7, vcc_lo
	s_delay_alu instid0(VALU_DEP_1) | instid1(SALU_CYCLE_1)
	v_cndmask_b32_e64 v103, v103, 0x7fff, s11
; %bb.1101:                             ;   in Loop: Header=BB4_1049 Depth=2
	s_or_b32 exec_lo, exec_lo, s29
.LBB4_1102:                             ;   in Loop: Header=BB4_1049 Depth=2
	s_delay_alu instid0(SALU_CYCLE_1)
	s_or_b32 exec_lo, exec_lo, s28
	s_mov_b32 s11, 0
.LBB4_1103:                             ;   in Loop: Header=BB4_1049 Depth=2
	s_delay_alu instid0(SALU_CYCLE_1)
	s_and_not1_b32 vcc_lo, exec_lo, s11
	s_cbranch_vccnz .LBB4_1109
; %bb.1104:                             ;   in Loop: Header=BB4_1049 Depth=2
	s_and_saveexec_b32 s11, s27
	s_cbranch_execz .LBB4_1108
; %bb.1105:                             ;   in Loop: Header=BB4_1049 Depth=2
	s_or_b32 s10, s7, s10
	s_delay_alu instid0(SALU_CYCLE_1)
	s_and_saveexec_b32 s27, s10
; %bb.1106:                             ;   in Loop: Header=BB4_1049 Depth=2
	v_cmp_gt_f16_e64 s10, v67, v68
	v_cmp_lt_u16_e32 vcc_lo, 0x7c00, v112
	s_delay_alu instid0(VALU_DEP_2)
	v_cndmask_b32_e64 v67, v67, v68, s10
	s_and_b32 s7, s7, vcc_lo
	s_delay_alu instid0(VALU_DEP_1) | instid1(SALU_CYCLE_1)
	v_cndmask_b32_e64 v67, v67, 0x7fff, s7
; %bb.1107:                             ;   in Loop: Header=BB4_1049 Depth=2
	s_or_b32 exec_lo, exec_lo, s27
	s_delay_alu instid0(VALU_DEP_1)
	v_mov_b32_e32 v68, v67
.LBB4_1108:                             ;   in Loop: Header=BB4_1049 Depth=2
	s_or_b32 exec_lo, exec_lo, s11
	s_delay_alu instid0(VALU_DEP_1)
	v_mov_b32_e32 v103, v68
.LBB4_1109:                             ;   in Loop: Header=BB4_1049 Depth=2
	v_and_b32_e32 v67, 0x7fff, v64
	s_waitcnt vmcnt(2) lgkmcnt(2)
	v_and_b32_e32 v68, 0x7fff, v65
	s_mov_b32 s11, -1
	s_and_not1_b32 vcc_lo, exec_lo, s25
	v_cmp_lt_u16_e64 s7, 0x7c00, v67
	s_delay_alu instid0(VALU_DEP_2) | instskip(NEXT) | instid1(VALU_DEP_1)
	v_cmp_gt_u16_e64 s10, 0x7c01, v68
                                        ; implicit-def: $vgpr67
	s_and_b32 s27, s7, s10
	s_delay_alu instid0(SALU_CYCLE_1)
	s_xor_b32 s27, s27, -1
	s_cbranch_vccnz .LBB4_1115
; %bb.1110:                             ;   in Loop: Header=BB4_1049 Depth=2
	v_mov_b32_e32 v67, v65
	s_and_saveexec_b32 s28, s27
	s_cbranch_execz .LBB4_1114
; %bb.1111:                             ;   in Loop: Header=BB4_1049 Depth=2
	v_mov_b32_e32 v67, v64
	s_or_b32 s11, s7, s10
	s_delay_alu instid0(SALU_CYCLE_1)
	s_and_saveexec_b32 s29, s11
; %bb.1112:                             ;   in Loop: Header=BB4_1049 Depth=2
	v_cmp_gt_f16_e64 s11, v64, v65
	v_cmp_lt_u16_e32 vcc_lo, 0x7c00, v68
	s_delay_alu instid0(VALU_DEP_2)
	v_cndmask_b32_e64 v67, v65, v64, s11
	s_and_b32 s11, s7, vcc_lo
	s_delay_alu instid0(VALU_DEP_1) | instid1(SALU_CYCLE_1)
	v_cndmask_b32_e64 v67, v67, 0x7fff, s11
; %bb.1113:                             ;   in Loop: Header=BB4_1049 Depth=2
	s_or_b32 exec_lo, exec_lo, s29
.LBB4_1114:                             ;   in Loop: Header=BB4_1049 Depth=2
	s_delay_alu instid0(SALU_CYCLE_1)
	s_or_b32 exec_lo, exec_lo, s28
	s_mov_b32 s11, 0
.LBB4_1115:                             ;   in Loop: Header=BB4_1049 Depth=2
	s_delay_alu instid0(SALU_CYCLE_1)
	s_and_not1_b32 vcc_lo, exec_lo, s11
	s_cbranch_vccnz .LBB4_1121
; %bb.1116:                             ;   in Loop: Header=BB4_1049 Depth=2
	s_and_saveexec_b32 s11, s27
	s_cbranch_execz .LBB4_1120
; %bb.1117:                             ;   in Loop: Header=BB4_1049 Depth=2
	s_or_b32 s10, s7, s10
	s_delay_alu instid0(SALU_CYCLE_1)
	s_and_saveexec_b32 s27, s10
; %bb.1118:                             ;   in Loop: Header=BB4_1049 Depth=2
	v_cmp_gt_f16_e64 s10, v64, v65
	v_cmp_lt_u16_e32 vcc_lo, 0x7c00, v68
	s_delay_alu instid0(VALU_DEP_2)
	v_cndmask_b32_e64 v64, v64, v65, s10
	s_and_b32 s7, s7, vcc_lo
	s_delay_alu instid0(VALU_DEP_1) | instid1(SALU_CYCLE_1)
	v_cndmask_b32_e64 v64, v64, 0x7fff, s7
; %bb.1119:                             ;   in Loop: Header=BB4_1049 Depth=2
	s_or_b32 exec_lo, exec_lo, s27
	s_delay_alu instid0(VALU_DEP_1)
	v_mov_b32_e32 v65, v64
.LBB4_1120:                             ;   in Loop: Header=BB4_1049 Depth=2
	s_or_b32 exec_lo, exec_lo, s11
	s_delay_alu instid0(VALU_DEP_1)
	v_mov_b32_e32 v67, v65
.LBB4_1121:                             ;   in Loop: Header=BB4_1049 Depth=2
	v_and_b32_e32 v64, 0x7fff, v23
	s_waitcnt vmcnt(1) lgkmcnt(1)
	v_and_b32_e32 v65, 0x7fff, v24
	s_mov_b32 s11, -1
	s_and_not1_b32 vcc_lo, exec_lo, s25
	v_cmp_lt_u16_e64 s7, 0x7c00, v64
	s_delay_alu instid0(VALU_DEP_2) | instskip(NEXT) | instid1(VALU_DEP_1)
	v_cmp_gt_u16_e64 s10, 0x7c01, v65
                                        ; implicit-def: $vgpr64
	s_and_b32 s27, s7, s10
	s_delay_alu instid0(SALU_CYCLE_1)
	s_xor_b32 s27, s27, -1
	s_cbranch_vccnz .LBB4_1127
; %bb.1122:                             ;   in Loop: Header=BB4_1049 Depth=2
	v_mov_b32_e32 v64, v24
	s_and_saveexec_b32 s28, s27
	s_cbranch_execz .LBB4_1126
; %bb.1123:                             ;   in Loop: Header=BB4_1049 Depth=2
	v_mov_b32_e32 v64, v23
	s_or_b32 s11, s7, s10
	s_delay_alu instid0(SALU_CYCLE_1)
	s_and_saveexec_b32 s29, s11
; %bb.1124:                             ;   in Loop: Header=BB4_1049 Depth=2
	v_cmp_gt_f16_e64 s11, v23, v24
	v_cmp_lt_u16_e32 vcc_lo, 0x7c00, v65
	s_delay_alu instid0(VALU_DEP_2)
	v_cndmask_b32_e64 v64, v24, v23, s11
	s_and_b32 s11, s7, vcc_lo
	s_delay_alu instid0(VALU_DEP_1) | instid1(SALU_CYCLE_1)
	v_cndmask_b32_e64 v64, v64, 0x7fff, s11
; %bb.1125:                             ;   in Loop: Header=BB4_1049 Depth=2
	s_or_b32 exec_lo, exec_lo, s29
.LBB4_1126:                             ;   in Loop: Header=BB4_1049 Depth=2
	s_delay_alu instid0(SALU_CYCLE_1)
	s_or_b32 exec_lo, exec_lo, s28
	s_mov_b32 s11, 0
.LBB4_1127:                             ;   in Loop: Header=BB4_1049 Depth=2
	s_delay_alu instid0(SALU_CYCLE_1)
	s_and_not1_b32 vcc_lo, exec_lo, s11
	s_cbranch_vccnz .LBB4_1133
; %bb.1128:                             ;   in Loop: Header=BB4_1049 Depth=2
	s_and_saveexec_b32 s11, s27
	s_cbranch_execz .LBB4_1132
; %bb.1129:                             ;   in Loop: Header=BB4_1049 Depth=2
	s_or_b32 s10, s7, s10
	s_delay_alu instid0(SALU_CYCLE_1)
	s_and_saveexec_b32 s27, s10
; %bb.1130:                             ;   in Loop: Header=BB4_1049 Depth=2
	v_cmp_gt_f16_e64 s10, v23, v24
	v_cmp_lt_u16_e32 vcc_lo, 0x7c00, v65
	s_delay_alu instid0(VALU_DEP_2)
	v_cndmask_b32_e64 v23, v23, v24, s10
	s_and_b32 s7, s7, vcc_lo
	s_delay_alu instid0(VALU_DEP_1) | instid1(SALU_CYCLE_1)
	v_cndmask_b32_e64 v23, v23, 0x7fff, s7
; %bb.1131:                             ;   in Loop: Header=BB4_1049 Depth=2
	s_or_b32 exec_lo, exec_lo, s27
	s_delay_alu instid0(VALU_DEP_1)
	v_mov_b32_e32 v24, v23
.LBB4_1132:                             ;   in Loop: Header=BB4_1049 Depth=2
	s_or_b32 exec_lo, exec_lo, s11
	s_delay_alu instid0(VALU_DEP_1)
	v_mov_b32_e32 v64, v24
.LBB4_1133:                             ;   in Loop: Header=BB4_1049 Depth=2
	v_and_b32_e32 v23, 0x7fff, v20
	s_waitcnt vmcnt(0) lgkmcnt(0)
	v_and_b32_e32 v24, 0x7fff, v21
	s_mov_b32 s11, -1
	s_and_not1_b32 vcc_lo, exec_lo, s25
	v_cmp_lt_u16_e64 s7, 0x7c00, v23
	s_delay_alu instid0(VALU_DEP_2) | instskip(NEXT) | instid1(VALU_DEP_1)
	v_cmp_gt_u16_e64 s10, 0x7c01, v24
                                        ; implicit-def: $vgpr23
	s_and_b32 s27, s7, s10
	s_delay_alu instid0(SALU_CYCLE_1)
	s_xor_b32 s27, s27, -1
	s_cbranch_vccnz .LBB4_1139
; %bb.1134:                             ;   in Loop: Header=BB4_1049 Depth=2
	v_mov_b32_e32 v23, v21
	s_and_saveexec_b32 s28, s27
	s_cbranch_execz .LBB4_1138
; %bb.1135:                             ;   in Loop: Header=BB4_1049 Depth=2
	v_mov_b32_e32 v23, v20
	s_or_b32 s11, s7, s10
	s_delay_alu instid0(SALU_CYCLE_1)
	s_and_saveexec_b32 s29, s11
; %bb.1136:                             ;   in Loop: Header=BB4_1049 Depth=2
	v_cmp_gt_f16_e64 s11, v20, v21
	v_cmp_lt_u16_e32 vcc_lo, 0x7c00, v24
	s_delay_alu instid0(VALU_DEP_2)
	v_cndmask_b32_e64 v23, v21, v20, s11
	s_and_b32 s11, s7, vcc_lo
	s_delay_alu instid0(VALU_DEP_1) | instid1(SALU_CYCLE_1)
	v_cndmask_b32_e64 v23, v23, 0x7fff, s11
; %bb.1137:                             ;   in Loop: Header=BB4_1049 Depth=2
	s_or_b32 exec_lo, exec_lo, s29
.LBB4_1138:                             ;   in Loop: Header=BB4_1049 Depth=2
	s_delay_alu instid0(SALU_CYCLE_1)
	s_or_b32 exec_lo, exec_lo, s28
	s_mov_b32 s11, 0
.LBB4_1139:                             ;   in Loop: Header=BB4_1049 Depth=2
	s_delay_alu instid0(SALU_CYCLE_1)
	s_and_not1_b32 vcc_lo, exec_lo, s11
	s_cbranch_vccnz .LBB4_1048
; %bb.1140:                             ;   in Loop: Header=BB4_1049 Depth=2
	s_and_saveexec_b32 s11, s27
	s_cbranch_execz .LBB4_1047
; %bb.1141:                             ;   in Loop: Header=BB4_1049 Depth=2
	s_or_b32 s10, s7, s10
	s_delay_alu instid0(SALU_CYCLE_1)
	s_and_saveexec_b32 s27, s10
	s_cbranch_execz .LBB4_1046
; %bb.1142:                             ;   in Loop: Header=BB4_1049 Depth=2
	v_cmp_gt_f16_e64 s10, v20, v21
	v_cmp_lt_u16_e32 vcc_lo, 0x7c00, v24
	s_delay_alu instid0(VALU_DEP_2)
	v_cndmask_b32_e64 v20, v20, v21, s10
	s_and_b32 s7, s7, vcc_lo
	s_delay_alu instid0(VALU_DEP_1) | instid1(SALU_CYCLE_1)
	v_cndmask_b32_e64 v20, v20, 0x7fff, s7
	s_branch .LBB4_1046
.LBB4_1143:                             ;   in Loop: Header=BB4_657 Depth=1
	s_or_b32 exec_lo, exec_lo, s26
.LBB4_1144:                             ;   in Loop: Header=BB4_657 Depth=1
	s_delay_alu instid0(SALU_CYCLE_1) | instskip(SKIP_1) | instid1(VALU_DEP_1)
	s_or_b32 exec_lo, exec_lo, s24
	v_lshlrev_b32_e32 v10, 9, v19
	v_cmp_ne_u32_e32 vcc_lo, v102, v10
	s_and_b32 exec_lo, exec_lo, vcc_lo
	s_cbranch_execz .LBB4_1161
; %bb.1145:                             ;   in Loop: Header=BB4_657 Depth=1
	v_ashrrev_i32_e32 v11, 31, v17
	v_lshlrev_b32_e32 v12, 5, v18
	s_delay_alu instid0(VALU_DEP_2) | instskip(NEXT) | instid1(VALU_DEP_1)
	v_lshrrev_b32_e32 v11, 27, v11
	v_add_nc_u32_e32 v11, v17, v11
	s_delay_alu instid0(VALU_DEP_1) | instskip(NEXT) | instid1(VALU_DEP_1)
	v_and_b32_e32 v11, 0xffffffe0, v11
	v_sub_nc_u32_e32 v11, v17, v11
	s_delay_alu instid0(VALU_DEP_1) | instskip(NEXT) | instid1(VALU_DEP_1)
	v_sub_nc_u32_e32 v11, v11, v12
	v_ashrrev_i32_e32 v12, 31, v11
	s_delay_alu instid0(VALU_DEP_1) | instskip(NEXT) | instid1(VALU_DEP_1)
	v_lshrrev_b32_e32 v12, 27, v12
	v_add_nc_u32_e32 v12, v11, v12
	s_delay_alu instid0(VALU_DEP_1) | instskip(SKIP_1) | instid1(VALU_DEP_2)
	v_and_b32_e32 v13, 0x7fffffe0, v12
	v_lshlrev_b32_e32 v12, 1, v12
	v_sub_nc_u32_e32 v11, v11, v13
	s_delay_alu instid0(VALU_DEP_2) | instskip(NEXT) | instid1(VALU_DEP_2)
	v_and_b32_e32 v12, 0xffffffc0, v12
	v_lshlrev_b32_e32 v11, 1, v11
	s_delay_alu instid0(VALU_DEP_1) | instskip(NEXT) | instid1(VALU_DEP_1)
	v_add3_u32 v10, v12, v11, v10
	v_sub_nc_u32_e32 v17, v102, v10
	s_delay_alu instid0(VALU_DEP_1)
	v_cmp_lt_i32_e32 vcc_lo, 1, v17
	s_and_b32 exec_lo, exec_lo, vcc_lo
	s_cbranch_execz .LBB4_1161
; %bb.1146:                             ;   in Loop: Header=BB4_657 Depth=1
	s_cbranch_execnz .LBB4_1700
; %bb.1147:                             ;   in Loop: Header=BB4_657 Depth=1
	ds_load_b128 v[11:14], v0
	ds_load_b64 v[18:19], v0
	v_add_nc_u32_e32 v15, v10, v16
	s_bitcmp1_b32 s23, 0
	s_mov_b32 s23, 0
	s_cselect_b32 s24, -1, 0
	s_delay_alu instid0(VALU_DEP_1) | instskip(SKIP_2) | instid1(VALU_DEP_2)
	v_ashrrev_i32_e32 v16, 31, v15
	s_waitcnt lgkmcnt(1)
	v_add_co_u32 v10, vcc_lo, v11, v15
	v_add_co_ci_u32_e32 v11, vcc_lo, v12, v16, vcc_lo
	v_add_co_u32 v12, vcc_lo, v13, v15
	v_add_co_ci_u32_e32 v13, vcc_lo, v14, v16, vcc_lo
	s_waitcnt lgkmcnt(0)
	v_add_co_u32 v14, vcc_lo, v18, v15
	v_add_co_ci_u32_e32 v15, vcc_lo, v19, v16, vcc_lo
	s_branch .LBB4_1151
.LBB4_1148:                             ;   in Loop: Header=BB4_1151 Depth=2
	s_or_b32 exec_lo, exec_lo, s25
	s_delay_alu instid0(VALU_DEP_1)
	v_mov_b32_e32 v18, v16
.LBB4_1149:                             ;   in Loop: Header=BB4_1151 Depth=2
	s_or_b32 exec_lo, exec_lo, s11
	s_delay_alu instid0(VALU_DEP_1)
	v_mov_b32_e32 v20, v18
.LBB4_1150:                             ;   in Loop: Header=BB4_1151 Depth=2
	v_add_co_u32 v10, vcc_lo, v10, v99
	v_sub_nc_u32_e32 v17, v17, v83
	v_add_co_ci_u32_e32 v11, vcc_lo, v11, v100, vcc_lo
	v_add_co_u32 v12, vcc_lo, v12, v99
	v_add_co_ci_u32_e32 v13, vcc_lo, v13, v100, vcc_lo
	flat_store_b16 v[14:15], v20 glc slc dlc
	v_cmp_gt_i32_e32 vcc_lo, 2, v17
	v_add_co_u32 v14, s7, v14, v99
	s_delay_alu instid0(VALU_DEP_1) | instskip(SKIP_1) | instid1(SALU_CYCLE_1)
	v_add_co_ci_u32_e64 v15, s7, v15, v100, s7
	s_or_b32 s23, vcc_lo, s23
	s_and_not1_b32 exec_lo, exec_lo, s23
	s_cbranch_execz .LBB4_1161
.LBB4_1151:                             ;   Parent Loop BB4_657 Depth=1
                                        ; =>  This Inner Loop Header: Depth=2
	flat_load_u16 v16, v[10:11] slc dlc
	flat_load_u16 v18, v[12:13] slc dlc
	s_mov_b32 s11, -1
	s_and_b32 vcc_lo, exec_lo, s24
	s_waitcnt vmcnt(1) lgkmcnt(1)
	v_and_b32_e32 v20, 0x7fff, v16
	s_waitcnt vmcnt(0) lgkmcnt(0)
	v_and_b32_e32 v19, 0x7fff, v18
	s_delay_alu instid0(VALU_DEP_2) | instskip(NEXT) | instid1(VALU_DEP_2)
	v_cmp_lt_u16_e64 s7, 0x7c00, v20
	v_cmp_gt_u16_e64 s10, 0x7c01, v19
                                        ; implicit-def: $vgpr20
	s_delay_alu instid0(VALU_DEP_1) | instskip(NEXT) | instid1(SALU_CYCLE_1)
	s_and_b32 s25, s7, s10
	s_xor_b32 s25, s25, -1
	s_cbranch_vccz .LBB4_1157
; %bb.1152:                             ;   in Loop: Header=BB4_1151 Depth=2
	v_mov_b32_e32 v20, v18
	s_and_saveexec_b32 s26, s25
	s_cbranch_execz .LBB4_1156
; %bb.1153:                             ;   in Loop: Header=BB4_1151 Depth=2
	v_mov_b32_e32 v20, v16
	s_or_b32 s11, s7, s10
	s_delay_alu instid0(SALU_CYCLE_1)
	s_and_saveexec_b32 s27, s11
; %bb.1154:                             ;   in Loop: Header=BB4_1151 Depth=2
	v_cmp_gt_f16_e64 s11, v16, v18
	v_cmp_lt_u16_e32 vcc_lo, 0x7c00, v19
	s_delay_alu instid0(VALU_DEP_2)
	v_cndmask_b32_e64 v20, v18, v16, s11
	s_and_b32 s11, s7, vcc_lo
	s_delay_alu instid0(VALU_DEP_1) | instid1(SALU_CYCLE_1)
	v_cndmask_b32_e64 v20, v20, 0x7fff, s11
; %bb.1155:                             ;   in Loop: Header=BB4_1151 Depth=2
	s_or_b32 exec_lo, exec_lo, s27
.LBB4_1156:                             ;   in Loop: Header=BB4_1151 Depth=2
	s_delay_alu instid0(SALU_CYCLE_1)
	s_or_b32 exec_lo, exec_lo, s26
	s_mov_b32 s11, 0
.LBB4_1157:                             ;   in Loop: Header=BB4_1151 Depth=2
	s_delay_alu instid0(SALU_CYCLE_1)
	s_and_not1_b32 vcc_lo, exec_lo, s11
	s_cbranch_vccnz .LBB4_1150
; %bb.1158:                             ;   in Loop: Header=BB4_1151 Depth=2
	s_and_saveexec_b32 s11, s25
	s_cbranch_execz .LBB4_1149
; %bb.1159:                             ;   in Loop: Header=BB4_1151 Depth=2
	s_or_b32 s10, s7, s10
	s_delay_alu instid0(SALU_CYCLE_1)
	s_and_saveexec_b32 s25, s10
	s_cbranch_execz .LBB4_1148
; %bb.1160:                             ;   in Loop: Header=BB4_1151 Depth=2
	v_cmp_gt_f16_e64 s10, v16, v18
	v_cmp_lt_u16_e32 vcc_lo, 0x7c00, v19
	s_delay_alu instid0(VALU_DEP_2)
	v_cndmask_b32_e64 v16, v16, v18, s10
	s_and_b32 s7, s7, vcc_lo
	s_delay_alu instid0(VALU_DEP_1) | instid1(SALU_CYCLE_1)
	v_cndmask_b32_e64 v16, v16, 0x7fff, s7
	s_branch .LBB4_1148
.LBB4_1161:                             ;   in Loop: Header=BB4_657 Depth=1
	s_or_b32 exec_lo, exec_lo, s12
	v_cmp_ne_u32_e64 s7, 0, v48
.LBB4_1162:                             ;   in Loop: Header=BB4_657 Depth=1
	s_and_saveexec_b32 s10, s2
	s_cbranch_execz .LBB4_1184
; %bb.1163:                             ;   in Loop: Header=BB4_657 Depth=1
	s_and_saveexec_b32 s11, s3
	s_delay_alu instid0(SALU_CYCLE_1)
	s_xor_b32 s11, exec_lo, s11
	s_cbranch_execz .LBB4_1181
; %bb.1164:                             ;   in Loop: Header=BB4_657 Depth=1
	s_and_saveexec_b32 s12, s4
	s_cbranch_execz .LBB4_1180
; %bb.1165:                             ;   in Loop: Header=BB4_657 Depth=1
	s_mov_b32 s24, exec_lo
	s_mov_b32 s23, exec_lo
	v_mbcnt_lo_u32_b32 v10, s24, 0
	s_waitcnt lgkmcnt(0)
	s_waitcnt_vscnt null, 0x0
	buffer_gl1_inv
	buffer_gl0_inv
	v_cmpx_eq_u32_e32 0, v10
	s_cbranch_execz .LBB4_1167
; %bb.1166:                             ;   in Loop: Header=BB4_657 Depth=1
	s_bcnt1_i32_b32 s24, s24
	s_delay_alu instid0(SALU_CYCLE_1)
	v_mov_b32_e32 v48, s24
	ds_add_u64 v0, v[48:49]
	s_cbranch_execnz .LBB4_1692
.LBB4_1167:                             ;   in Loop: Header=BB4_657 Depth=1
	s_or_b32 exec_lo, exec_lo, s23
	s_cbranch_execnz .LBB4_1672
; %bb.1168:                             ;   in Loop: Header=BB4_657 Depth=1
	ds_load_b64 v[10:11], v0
	v_add_co_u32 v36, vcc_lo, v36, v70
	v_add_co_ci_u32_e32 v37, vcc_lo, 0, v37, vcc_lo
	s_mov_b32 s23, exec_lo
	s_waitcnt lgkmcnt(0)
	s_delay_alu instid0(VALU_DEP_1)
	v_cmpx_lt_u64_e64 v[10:11], v[36:37]
	s_cbranch_execz .LBB4_1179
; %bb.1169:                             ;   in Loop: Header=BB4_657 Depth=1
	s_mov_b32 s24, 0
	s_mov_b32 s27, 0
                                        ; implicit-def: $sgpr25
                                        ; implicit-def: $sgpr26
	s_branch .LBB4_1171
.LBB4_1170:                             ;   in Loop: Header=BB4_1171 Depth=2
	s_or_b32 exec_lo, exec_lo, vcc_hi
	s_delay_alu instid0(SALU_CYCLE_1) | instskip(NEXT) | instid1(SALU_CYCLE_1)
	s_and_b32 s28, exec_lo, s29
	s_or_b32 s24, s28, s24
	s_and_not1_b32 s25, s25, exec_lo
	s_and_b32 s28, s26, exec_lo
	s_delay_alu instid0(SALU_CYCLE_1)
	s_or_b32 s25, s25, s28
	s_and_not1_b32 exec_lo, exec_lo, s24
	s_cbranch_execz .LBB4_1177
.LBB4_1171:                             ;   Parent Loop BB4_657 Depth=1
                                        ; =>  This Inner Loop Header: Depth=2
	s_add_i32 s27, s27, 1
                                        ; implicit-def: $sgpr29
	s_delay_alu instid0(SALU_CYCLE_1) | instskip(SKIP_1) | instid1(SALU_CYCLE_1)
	s_cmpk_lg_i32 s27, 0x2710
	s_cselect_b32 s28, -1, 0
	s_and_b32 vcc_lo, exec_lo, s28
	s_cbranch_vccz .LBB4_1175
.LBB4_1172:                             ;   in Loop: Header=BB4_1171 Depth=2
	s_and_not1_b32 s26, s26, exec_lo
	s_and_b32 vcc_lo, s29, exec_lo
	s_mov_b32 s29, -1
	s_or_b32 s26, s26, vcc_lo
	s_and_saveexec_b32 vcc_hi, s28
	s_cbranch_execz .LBB4_1170
; %bb.1173:                             ;   in Loop: Header=BB4_1171 Depth=2
	s_sleep 1
	s_cbranch_execnz .LBB4_1708
; %bb.1174:                             ;   in Loop: Header=BB4_1171 Depth=2
	ds_load_b64 v[10:11], v0
	s_and_not1_b32 s26, s26, exec_lo
	s_waitcnt lgkmcnt(0)
	v_cmp_ge_u64_e32 vcc_lo, v[10:11], v[36:37]
	s_or_not1_b32 s29, vcc_lo, exec_lo
	s_branch .LBB4_1170
.LBB4_1175:                             ;   in Loop: Header=BB4_1171 Depth=2
	s_cbranch_execnz .LBB4_1714
; %bb.1176:                             ;   in Loop: Header=BB4_1171 Depth=2
	ds_load_b64 v[10:11], v0
	s_and_not1_b32 s28, s28, exec_lo
	s_mov_b32 s27, 0
	s_mov_b32 s29, -1
	s_waitcnt lgkmcnt(0)
	flat_load_b32 v10, v[10:11] glc
	s_waitcnt vmcnt(0) lgkmcnt(0)
	buffer_gl1_inv
	buffer_gl0_inv
	v_cmp_eq_u32_e32 vcc_lo, 0, v10
	s_and_b32 vcc_lo, vcc_lo, exec_lo
	s_delay_alu instid0(SALU_CYCLE_1)
	s_or_b32 s28, s28, vcc_lo
	s_branch .LBB4_1172
.LBB4_1177:                             ;   in Loop: Header=BB4_657 Depth=1
	s_or_b32 exec_lo, exec_lo, s24
	s_and_saveexec_b32 s24, s25
	s_delay_alu instid0(SALU_CYCLE_1)
	s_xor_b32 s24, exec_lo, s24
	s_cbranch_execz .LBB4_1179
; %bb.1178:                             ;   in Loop: Header=BB4_657 Depth=1
	ds_store_b32 v0, v101
	s_cbranch_execnz .LBB4_1738
.LBB4_1179:                             ;   in Loop: Header=BB4_657 Depth=1
	s_or_b32 exec_lo, exec_lo, s23
	;;#ASMSTART
	s_wakeup
	;;#ASMEND
.LBB4_1180:                             ;   in Loop: Header=BB4_657 Depth=1
	s_or_b32 exec_lo, exec_lo, s12
.LBB4_1181:                             ;   in Loop: Header=BB4_657 Depth=1
	s_and_not1_saveexec_b32 s11, s11
	s_cbranch_execz .LBB4_1183
; %bb.1182:                             ;   in Loop: Header=BB4_657 Depth=1
	s_waitcnt lgkmcnt(0)
	s_waitcnt_vscnt null, 0x0
	buffer_gl1_inv
	buffer_gl0_inv
	s_barrier
.LBB4_1183:                             ;   in Loop: Header=BB4_657 Depth=1
	s_or_b32 exec_lo, exec_lo, s11
.LBB4_1184:                             ;   in Loop: Header=BB4_657 Depth=1
	s_delay_alu instid0(SALU_CYCLE_1) | instskip(SKIP_1) | instid1(VALU_DEP_1)
	s_or_b32 exec_lo, exec_lo, s10
	v_and_b32_e32 v10, 16, v30
	v_cmp_ne_u32_e32 vcc_lo, 0, v10
	s_and_b32 s10, vcc_lo, s7
	s_delay_alu instid0(SALU_CYCLE_1)
	s_and_saveexec_b32 s7, s10
	s_cbranch_execz .LBB4_1186
; %bb.1185:                             ;   in Loop: Header=BB4_657 Depth=1
	s_waitcnt lgkmcnt(0)
	s_waitcnt_vscnt null, 0x0
	buffer_gl1_inv
	buffer_gl0_inv
.LBB4_1186:                             ;   in Loop: Header=BB4_657 Depth=1
	s_or_b32 exec_lo, exec_lo, s7
	v_and_b32_e32 v10, 32, v30
	s_mov_b32 s7, exec_lo
	s_delay_alu instid0(VALU_DEP_1)
	v_cmpx_ne_u32_e32 0, v10
	s_cbranch_execz .LBB4_1188
; %bb.1187:                             ;   in Loop: Header=BB4_657 Depth=1
	v_add_co_u32 v8, vcc_lo, v8, 1
	v_add_co_ci_u32_e32 v9, vcc_lo, 0, v9, vcc_lo
	s_waitcnt lgkmcnt(0)
	s_waitcnt_vscnt null, 0x0
	flat_store_b64 v[28:29], v[8:9]
.LBB4_1188:                             ;   in Loop: Header=BB4_657 Depth=1
	s_or_b32 exec_lo, exec_lo, s7
	v_mov_b32_e32 v14, v55
.LBB4_1189:                             ;   in Loop: Header=BB4_657 Depth=1
	s_or_b32 exec_lo, exec_lo, s22
	s_and_saveexec_b32 s10, s21
	s_cbranch_execz .LBB4_1242
; %bb.1190:                             ;   in Loop: Header=BB4_657 Depth=1
	v_and_b32_e32 v10, 4, v30
	s_mov_b32 s11, -1
	s_mov_b32 s7, exec_lo
	s_delay_alu instid0(VALU_DEP_1)
	v_cmpx_ne_u32_e32 0, v10
	s_cbranch_execz .LBB4_1204
; %bb.1191:                             ;   in Loop: Header=BB4_657 Depth=1
	s_waitcnt lgkmcnt(0)
	v_add_co_u32 v10, vcc_lo, v8, 1
	v_add_co_ci_u32_e32 v11, vcc_lo, 0, v9, vcc_lo
	v_mov_b32_e32 v12, 1
	s_mov_b32 s11, exec_lo
	s_delay_alu instid0(VALU_DEP_2)
	v_cmpx_lt_u64_e64 v[34:35], v[10:11]
	s_cbranch_execz .LBB4_1203
; %bb.1192:                             ;   in Loop: Header=BB4_657 Depth=1
	v_mov_b32_e32 v12, 0
	s_mov_b32 s12, 0
                                        ; implicit-def: $sgpr21
	s_branch .LBB4_1196
.LBB4_1193:                             ;   in Loop: Header=BB4_1196 Depth=2
	s_or_b32 exec_lo, exec_lo, s25
	v_mov_b32_e32 v13, 0
	s_or_not1_b32 s24, s24, exec_lo
.LBB4_1194:                             ;   in Loop: Header=BB4_1196 Depth=2
	s_or_b32 exec_lo, exec_lo, s23
	s_delay_alu instid0(VALU_DEP_1) | instskip(SKIP_2) | instid1(SALU_CYCLE_1)
	v_mov_b32_e32 v12, v13
	s_and_not1_b32 s21, s21, exec_lo
	s_and_b32 s23, s24, exec_lo
	s_or_b32 s21, s21, s23
.LBB4_1195:                             ;   in Loop: Header=BB4_1196 Depth=2
	s_or_b32 exec_lo, exec_lo, s22
	s_waitcnt vmcnt(0) lgkmcnt(0)
	v_cmp_ge_u64_e32 vcc_lo, v[34:35], v[10:11]
	s_xor_b32 s22, s21, -1
	s_delay_alu instid0(SALU_CYCLE_1) | instskip(NEXT) | instid1(SALU_CYCLE_1)
	s_or_b32 s22, s22, vcc_lo
	s_and_b32 s22, exec_lo, s22
	s_delay_alu instid0(SALU_CYCLE_1) | instskip(NEXT) | instid1(SALU_CYCLE_1)
	s_or_b32 s12, s22, s12
	s_and_not1_b32 exec_lo, exec_lo, s12
	s_cbranch_execz .LBB4_1202
.LBB4_1196:                             ;   Parent Loop BB4_657 Depth=1
                                        ; =>  This Inner Loop Header: Depth=2
	s_sleep 1
	flat_load_b64 v[34:35], v[28:29] glc
	v_and_b32_e32 v13, 64, v30
	s_and_not1_b32 s21, s21, exec_lo
	s_mov_b32 s22, exec_lo
	s_delay_alu instid0(VALU_DEP_1)
	v_cmpx_eq_u32_e32 0, v13
	s_cbranch_execz .LBB4_1195
; %bb.1197:                             ;   in Loop: Header=BB4_1196 Depth=2
	v_add_nc_u32_e32 v13, 1, v12
	s_mov_b32 s24, -1
	s_mov_b32 s23, exec_lo
	v_cmpx_lt_i32_e32 0x270e, v12
	s_cbranch_execz .LBB4_1194
; %bb.1198:                             ;   in Loop: Header=BB4_1196 Depth=2
	s_cbranch_execnz .LBB4_1564
; %bb.1199:                             ;   in Loop: Header=BB4_1196 Depth=2
	ds_load_b64 v[12:13], v0
	s_mov_b32 s25, exec_lo
	s_waitcnt vmcnt(0) lgkmcnt(0)
	s_waitcnt_vscnt null, 0x0
	flat_load_b32 v12, v[12:13] glc
	s_waitcnt vmcnt(0) lgkmcnt(0)
	buffer_gl1_inv
	buffer_gl0_inv
	v_cmpx_ne_u32_e32 0, v12
	s_cbranch_execz .LBB4_1193
; %bb.1200:                             ;   in Loop: Header=BB4_1196 Depth=2
	ds_store_b32 v0, v12
	s_cbranch_execnz .LBB4_1598
; %bb.1201:                             ;   in Loop: Header=BB4_1196 Depth=2
	v_or_b32_e32 v30, 64, v30
	s_xor_b32 s24, exec_lo, -1
	s_branch .LBB4_1193
.LBB4_1202:                             ;   in Loop: Header=BB4_657 Depth=1
	s_or_b32 exec_lo, exec_lo, s12
	v_and_b32_e32 v12, 4, v30
.LBB4_1203:                             ;   in Loop: Header=BB4_657 Depth=1
	s_or_b32 exec_lo, exec_lo, s11
	s_delay_alu instid0(VALU_DEP_1)
	v_cmp_eq_u32_e32 vcc_lo, 0, v12
	;;#ASMSTART
	s_wakeup
	;;#ASMEND
	s_or_not1_b32 s11, vcc_lo, exec_lo
.LBB4_1204:                             ;   in Loop: Header=BB4_657 Depth=1
	s_or_b32 exec_lo, exec_lo, s7
	s_xor_b32 s7, s11, -1
	s_delay_alu instid0(SALU_CYCLE_1)
	s_and_saveexec_b32 s11, s7
	s_cbranch_execz .LBB4_1214
; %bb.1205:                             ;   in Loop: Header=BB4_657 Depth=1
	v_and_b32_e32 v10, 0x100, v30
	s_waitcnt lgkmcnt(0)
	v_and_b32_e32 v15, 7, v8
	s_mov_b32 s7, -1
	s_delay_alu instid0(VALU_DEP_2)
	v_cmp_ne_u32_e32 vcc_lo, 0, v10
                                        ; implicit-def: $vgpr10_vgpr11
	s_and_saveexec_b32 s12, vcc_lo
	s_cbranch_execz .LBB4_1209
; %bb.1206:                             ;   in Loop: Header=BB4_657 Depth=1
	v_mad_u64_u32 v[12:13], null, v15, 24, v[6:7]
	flat_load_b32 v10, v[12:13]
	s_waitcnt vmcnt(0) lgkmcnt(0)
	v_cmp_ne_u32_e32 vcc_lo, 1, v10
	v_cmp_eq_u32_e64 s7, 1, v10
                                        ; implicit-def: $vgpr10_vgpr11
	s_delay_alu instid0(VALU_DEP_1)
	s_and_saveexec_b32 s21, s7
	s_cbranch_execz .LBB4_1208
; %bb.1207:                             ;   in Loop: Header=BB4_657 Depth=1
	flat_load_b32 v10, v[12:13] offset:4 glc
	s_waitcnt vmcnt(0) lgkmcnt(0)
	v_ashrrev_i32_e32 v11, 31, v10
	s_delay_alu instid0(VALU_DEP_1)
	v_lshrrev_b64 v[10:11], 1, v[10:11]
.LBB4_1208:                             ;   in Loop: Header=BB4_657 Depth=1
	s_or_b32 exec_lo, exec_lo, s21
	s_delay_alu instid0(SALU_CYCLE_1)
	s_or_not1_b32 s7, vcc_lo, exec_lo
.LBB4_1209:                             ;   in Loop: Header=BB4_657 Depth=1
	s_or_b32 exec_lo, exec_lo, s12
	s_and_saveexec_b32 s12, s7
; %bb.1210:                             ;   in Loop: Header=BB4_657 Depth=1
	v_mad_i64_i32 v[10:11], null, v15, v81, 0
; %bb.1211:                             ;   in Loop: Header=BB4_657 Depth=1
	s_or_b32 exec_lo, exec_lo, s12
	s_delay_alu instid0(VALU_DEP_1) | instskip(SKIP_2) | instid1(VALU_DEP_2)
	v_lshlrev_b64 v[10:11], 1, v[10:11]
	v_and_b32_e32 v12, 0x2000, v30
	s_mov_b32 s7, exec_lo
	v_add_co_u32 v10, vcc_lo, v32, v10
	s_delay_alu instid0(VALU_DEP_3)
	v_add_co_ci_u32_e32 v11, vcc_lo, v33, v11, vcc_lo
	ds_store_b64 v0, v[10:11] offset:728
	v_cmpx_ne_u32_e32 0, v12
	s_cbranch_execz .LBB4_1213
; %bb.1212:                             ;   in Loop: Header=BB4_657 Depth=1
	ds_load_b64 v[10:11], v0 offset:584
	s_waitcnt lgkmcnt(0)
	v_add_co_u32 v10, vcc_lo, v10, 1
	v_add_co_ci_u32_e32 v11, vcc_lo, 0, v11, vcc_lo
	ds_store_b64 v0, v[10:11] offset:584
.LBB4_1213:                             ;   in Loop: Header=BB4_657 Depth=1
	s_or_b32 exec_lo, exec_lo, s7
	v_add_co_u32 v8, vcc_lo, v8, 1
	v_add_co_ci_u32_e32 v9, vcc_lo, 0, v9, vcc_lo
.LBB4_1214:                             ;   in Loop: Header=BB4_657 Depth=1
	s_or_b32 exec_lo, exec_lo, s11
	s_and_saveexec_b32 s7, s2
	s_cbranch_execz .LBB4_1236
; %bb.1215:                             ;   in Loop: Header=BB4_657 Depth=1
	s_and_saveexec_b32 s11, s3
	s_delay_alu instid0(SALU_CYCLE_1)
	s_xor_b32 s11, exec_lo, s11
	s_cbranch_execz .LBB4_1233
; %bb.1216:                             ;   in Loop: Header=BB4_657 Depth=1
	s_and_saveexec_b32 s12, s4
	s_cbranch_execz .LBB4_1232
; %bb.1217:                             ;   in Loop: Header=BB4_657 Depth=1
	s_mov_b32 s22, exec_lo
	s_mov_b32 s21, exec_lo
	v_mbcnt_lo_u32_b32 v10, s22, 0
	s_waitcnt lgkmcnt(0)
	s_waitcnt_vscnt null, 0x0
	buffer_gl1_inv
	buffer_gl0_inv
	v_cmpx_eq_u32_e32 0, v10
	s_cbranch_execz .LBB4_1219
; %bb.1218:                             ;   in Loop: Header=BB4_657 Depth=1
	s_bcnt1_i32_b32 s22, s22
	s_delay_alu instid0(SALU_CYCLE_1)
	v_mov_b32_e32 v48, s22
	ds_add_u64 v0, v[48:49]
	s_cbranch_execnz .LBB4_1614
.LBB4_1219:                             ;   in Loop: Header=BB4_657 Depth=1
	s_or_b32 exec_lo, exec_lo, s21
	s_cbranch_execnz .LBB4_1600
; %bb.1220:                             ;   in Loop: Header=BB4_657 Depth=1
	ds_load_b64 v[10:11], v0
	v_add_co_u32 v36, vcc_lo, v36, v70
	v_add_co_ci_u32_e32 v37, vcc_lo, 0, v37, vcc_lo
	s_mov_b32 s21, exec_lo
	s_waitcnt lgkmcnt(0)
	s_delay_alu instid0(VALU_DEP_1)
	v_cmpx_lt_u64_e64 v[10:11], v[36:37]
	s_cbranch_execz .LBB4_1231
; %bb.1221:                             ;   in Loop: Header=BB4_657 Depth=1
	s_mov_b32 s22, 0
	s_mov_b32 s25, 0
                                        ; implicit-def: $sgpr23
                                        ; implicit-def: $sgpr24
	s_branch .LBB4_1223
.LBB4_1222:                             ;   in Loop: Header=BB4_1223 Depth=2
	s_or_b32 exec_lo, exec_lo, s28
	s_delay_alu instid0(SALU_CYCLE_1) | instskip(NEXT) | instid1(SALU_CYCLE_1)
	s_and_b32 s26, exec_lo, s27
	s_or_b32 s22, s26, s22
	s_and_not1_b32 s23, s23, exec_lo
	s_and_b32 s26, s24, exec_lo
	s_delay_alu instid0(SALU_CYCLE_1)
	s_or_b32 s23, s23, s26
	s_and_not1_b32 exec_lo, exec_lo, s22
	s_cbranch_execz .LBB4_1229
.LBB4_1223:                             ;   Parent Loop BB4_657 Depth=1
                                        ; =>  This Inner Loop Header: Depth=2
	s_add_i32 s25, s25, 1
                                        ; implicit-def: $sgpr27
	s_delay_alu instid0(SALU_CYCLE_1) | instskip(SKIP_1) | instid1(SALU_CYCLE_1)
	s_cmpk_lg_i32 s25, 0x2710
	s_cselect_b32 s26, -1, 0
	s_and_b32 vcc_lo, exec_lo, s26
	s_cbranch_vccz .LBB4_1227
.LBB4_1224:                             ;   in Loop: Header=BB4_1223 Depth=2
	s_and_not1_b32 s24, s24, exec_lo
	s_and_b32 s28, s27, exec_lo
	s_mov_b32 s27, -1
	s_or_b32 s24, s24, s28
	s_and_saveexec_b32 s28, s26
	s_cbranch_execz .LBB4_1222
; %bb.1225:                             ;   in Loop: Header=BB4_1223 Depth=2
	s_sleep 1
	s_cbranch_execnz .LBB4_1650
; %bb.1226:                             ;   in Loop: Header=BB4_1223 Depth=2
	ds_load_b64 v[10:11], v0
	s_and_not1_b32 s24, s24, exec_lo
	s_waitcnt lgkmcnt(0)
	v_cmp_ge_u64_e32 vcc_lo, v[10:11], v[36:37]
	s_or_not1_b32 s27, vcc_lo, exec_lo
	s_branch .LBB4_1222
.LBB4_1227:                             ;   in Loop: Header=BB4_1223 Depth=2
	s_cbranch_execnz .LBB4_1668
; %bb.1228:                             ;   in Loop: Header=BB4_1223 Depth=2
	ds_load_b64 v[10:11], v0
	s_and_not1_b32 s26, s26, exec_lo
	s_mov_b32 s25, 0
	s_mov_b32 s27, -1
	s_waitcnt lgkmcnt(0)
	flat_load_b32 v10, v[10:11] glc
	s_waitcnt vmcnt(0) lgkmcnt(0)
	buffer_gl1_inv
	buffer_gl0_inv
	v_cmp_eq_u32_e32 vcc_lo, 0, v10
	s_and_b32 s28, vcc_lo, exec_lo
	s_delay_alu instid0(SALU_CYCLE_1)
	s_or_b32 s26, s26, s28
	s_branch .LBB4_1224
.LBB4_1229:                             ;   in Loop: Header=BB4_657 Depth=1
	s_or_b32 exec_lo, exec_lo, s22
	s_and_saveexec_b32 s22, s23
	s_delay_alu instid0(SALU_CYCLE_1)
	s_xor_b32 s22, exec_lo, s22
	s_cbranch_execz .LBB4_1231
; %bb.1230:                             ;   in Loop: Header=BB4_657 Depth=1
	ds_store_b32 v0, v101
	s_cbranch_execnz .LBB4_1728
.LBB4_1231:                             ;   in Loop: Header=BB4_657 Depth=1
	s_or_b32 exec_lo, exec_lo, s21
	;;#ASMSTART
	s_wakeup
	;;#ASMEND
.LBB4_1232:                             ;   in Loop: Header=BB4_657 Depth=1
	s_or_b32 exec_lo, exec_lo, s12
.LBB4_1233:                             ;   in Loop: Header=BB4_657 Depth=1
	s_and_not1_saveexec_b32 s11, s11
	s_cbranch_execz .LBB4_1235
; %bb.1234:                             ;   in Loop: Header=BB4_657 Depth=1
	s_waitcnt lgkmcnt(0)
	s_waitcnt_vscnt null, 0x0
	buffer_gl1_inv
	buffer_gl0_inv
	s_barrier
.LBB4_1235:                             ;   in Loop: Header=BB4_657 Depth=1
	s_or_b32 exec_lo, exec_lo, s11
.LBB4_1236:                             ;   in Loop: Header=BB4_657 Depth=1
	s_delay_alu instid0(SALU_CYCLE_1)
	s_or_b32 exec_lo, exec_lo, s7
	s_cbranch_execnz .LBB4_1535
; %bb.1237:                             ;   in Loop: Header=BB4_657 Depth=1
	ds_load_b32 v10, v0
	v_sub_nc_u32_e32 v11, v54, v14
	s_delay_alu instid0(VALU_DEP_1) | instskip(NEXT) | instid1(VALU_DEP_1)
	v_min_i32_e32 v11, v55, v11
	v_cmp_lt_i32_e32 vcc_lo, 0, v11
	s_waitcnt lgkmcnt(0)
	v_readfirstlane_b32 s7, v10
	v_and_b32_e32 v10, 16, v30
	s_delay_alu instid0(VALU_DEP_2) | instskip(NEXT) | instid1(VALU_DEP_1)
	s_cmp_eq_u32 s7, 0
	v_cmp_ne_u32_e64 s7, 0, v10
	s_cselect_b32 s11, -1, 0
	s_delay_alu instid0(SALU_CYCLE_1)
	s_and_b32 s11, vcc_lo, s11
	s_delay_alu instid0(VALU_DEP_1) | instid1(SALU_CYCLE_1)
	s_and_b32 s11, s7, s11
	s_delay_alu instid0(SALU_CYCLE_1)
	s_and_saveexec_b32 s7, s11
	s_cbranch_execz .LBB4_1239
; %bb.1238:                             ;   in Loop: Header=BB4_657 Depth=1
	s_waitcnt_vscnt null, 0x0
	buffer_gl1_inv
	buffer_gl0_inv
.LBB4_1239:                             ;   in Loop: Header=BB4_657 Depth=1
	s_or_b32 exec_lo, exec_lo, s7
	v_and_b32_e32 v10, 32, v30
	s_mov_b32 s7, exec_lo
	s_delay_alu instid0(VALU_DEP_1)
	v_cmpx_ne_u32_e32 0, v10
	s_cbranch_execz .LBB4_1241
; %bb.1240:                             ;   in Loop: Header=BB4_657 Depth=1
	v_add_co_u32 v8, vcc_lo, v8, 1
	v_add_co_ci_u32_e32 v9, vcc_lo, 0, v9, vcc_lo
	s_waitcnt_vscnt null, 0x0
	flat_store_b64 v[28:29], v[8:9]
.LBB4_1241:                             ;   in Loop: Header=BB4_657 Depth=1
	s_or_b32 exec_lo, exec_lo, s7
.LBB4_1242:                             ;   in Loop: Header=BB4_657 Depth=1
	s_delay_alu instid0(SALU_CYCLE_1) | instskip(SKIP_2) | instid1(VALU_DEP_1)
	s_or_b32 exec_lo, exec_lo, s10
	v_add_co_u32 v52, vcc_lo, v52, v38
	v_add_co_ci_u32_e32 v53, vcc_lo, 0, v53, vcc_lo
	v_cmp_ge_u64_e32 vcc_lo, v[52:53], v[4:5]
	s_or_b32 s18, vcc_lo, s18
	s_delay_alu instid0(SALU_CYCLE_1)
	s_and_not1_b32 exec_lo, exec_lo, s18
	s_cbranch_execnz .LBB4_657
; %bb.1243:
	s_or_b32 exec_lo, exec_lo, s18
.LBB4_1244:
	s_delay_alu instid0(SALU_CYCLE_1)
	s_or_b32 exec_lo, exec_lo, s14
.LBB4_1245:
	s_delay_alu instid0(SALU_CYCLE_1)
	s_or_b32 exec_lo, exec_lo, s13
                                        ; implicit-def: $vgpr50_vgpr51
                                        ; implicit-def: $vgpr4_vgpr5
                                        ; implicit-def: $vgpr48_vgpr49
                                        ; implicit-def: $vgpr81
                                        ; implicit-def: $vgpr34_vgpr35
                                        ; implicit-def: $vgpr32_vgpr33
                                        ; implicit-def: $vgpr28_vgpr29
                                        ; implicit-def: $vgpr0
                                        ; implicit-def: $vgpr22
                                        ; implicit-def: $vgpr38_vgpr39
.LBB4_1246:
	s_and_not1_saveexec_b32 s12, s17
	s_cbranch_execz .LBB4_1447
; %bb.1247:
	v_mov_b32_e32 v36, 0
	v_mov_b32_e32 v37, 0
	s_mov_b32 s13, exec_lo
	v_cmpx_ne_u64_e32 0, v[4:5]
	s_cbranch_execz .LBB4_1446
; %bb.1248:
	v_cmp_ge_i32_e64 s1, v0, v1
	s_cbranch_execnz .LBB4_1476
; %bb.1249:
	v_ashrrev_i32_e32 v10, 31, v0
	v_lshrrev_b32_e32 v25, 5, v1
	v_and_b32_e32 v12, 31, v31
	s_lshr_b32 s4, s16, 27
	v_cmp_eq_u32_e32 vcc_lo, 32, v1
	v_lshrrev_b32_e32 v10, 27, v10
	v_lshlrev_b32_e32 v53, 9, v25
	v_lshlrev_b32_e32 v55, 6, v25
	s_add_i32 s16, s16, s4
	v_cmp_eq_u32_e64 s4, 0, v12
	v_dual_mov_b32 v11, 0 :: v_dual_add_nc_u32 v10, v0, v10
	v_add_nc_u32_e32 v14, 0xfffffe00, v53
	v_subrev_nc_u32_e32 v15, 64, v55
	v_ashrrev_i32_e32 v24, 31, v81
	s_delay_alu instid0(VALU_DEP_4)
	v_and_b32_e32 v13, 0xffffffe0, v10
	v_ashrrev_i32_e32 v52, 5, v10
	v_lshl_add_u32 v10, v25, 11, 0xfffff800
	v_add_co_u32 v68, s7, 0x200, v14
	v_cmp_ne_u32_e64 s2, 32, v1
	v_cmp_ne_u32_e64 s3, v80, v1
	s_delay_alu instid0(VALU_DEP_4) | instskip(SKIP_3) | instid1(VALU_DEP_3)
	v_ashrrev_i32_e32 v12, 31, v10
	v_add_co_u32 v65, s5, 0x800, v10
	v_ashrrev_i32_e32 v10, 31, v14
	s_ashr_i32 s16, s16, 5
	v_add_co_ci_u32_e64 v66, s5, 0, v12, s5
	s_mov_b32 s14, 0
	s_delay_alu instid0(VALU_DEP_2)
	v_add_co_ci_u32_e64 v69, s7, 0, v10, s7
	v_ashrrev_i32_e32 v10, 31, v15
	v_add_co_u32 v70, s7, v15, 64
	v_lshlrev_b64 v[14:15], 1, v[50:51]
	v_mov_b32_e32 v50, 1
	v_sub_nc_u32_e32 v54, v0, v13
	v_lshlrev_b32_e32 v13, 11, v52
	v_add_co_ci_u32_e64 v71, s7, 0, v10, s7
	s_waitcnt lgkmcnt(2)
	v_cmp_ne_u64_e64 s7, 0, v[48:49]
	v_cmp_gt_i32_e64 s5, 1, v54
	v_lshl_add_u32 v64, v54, 4, v13
	v_mov_b32_e32 v12, 0
	v_mov_b32_e32 v13, 0
	v_cmp_lt_i32_e64 s6, v54, v22
	s_xor_b32 s17, vcc_lo, -1
	v_ashrrev_i32_e32 v67, 31, v64
	s_delay_alu instid0(VALU_DEP_3)
	v_dual_mov_b32 v37, v13 :: v_dual_mov_b32 v36, v12
.LBB4_1250:                             ; =>This Loop Header: Depth=1
                                        ;     Child Loop BB4_1260 Depth 2
                                        ;     Child Loop BB4_1287 Depth 2
	;; [unrolled: 1-line block ×10, first 2 shown]
	v_sub_co_u32 v16, vcc_lo, v4, v12
	v_sub_co_ci_u32_e32 v17, vcc_lo, v5, v13, vcc_lo
	s_delay_alu instid0(VALU_DEP_1) | instskip(SKIP_2) | instid1(VALU_DEP_2)
	v_cmp_lt_u64_e32 vcc_lo, v[38:39], v[16:17]
	v_cndmask_b32_e32 v16, v16, v38, vcc_lo
	v_cndmask_b32_e64 v17, v17, 0, vcc_lo
	v_add_nc_u32_e32 v10, 15, v16
	s_delay_alu instid0(VALU_DEP_2) | instskip(NEXT) | instid1(VALU_DEP_2)
	v_cmp_eq_u64_e32 vcc_lo, 0, v[16:17]
	v_and_b32_e32 v10, 0x3ffffff0, v10
	s_or_b32 s18, s1, vcc_lo
	s_delay_alu instid0(SALU_CYCLE_1) | instskip(NEXT) | instid1(VALU_DEP_1)
	s_xor_b32 s10, s18, -1
	v_max_i32_e32 v21, s16, v10
	v_mov_b32_e32 v10, 0
	s_and_saveexec_b32 s19, s10
	s_cbranch_execz .LBB4_1387
; %bb.1251:                             ;   in Loop: Header=BB4_1250 Depth=1
	s_and_saveexec_b32 s10, s0
	s_cbranch_execz .LBB4_1254
; %bb.1252:                             ;   in Loop: Header=BB4_1250 Depth=1
	s_cbranch_execnz .LBB4_1517
; %bb.1253:                             ;   in Loop: Header=BB4_1250 Depth=1
	ds_load_b64 v[17:18], v0
	s_waitcnt lgkmcnt(1)
	v_lshlrev_b64 v[19:20], 1, v[12:13]
	s_waitcnt lgkmcnt(0)
	v_add_co_u32 v10, vcc_lo, v17, v14
	v_add_co_ci_u32_e32 v18, vcc_lo, v18, v15, vcc_lo
	s_delay_alu instid0(VALU_DEP_2) | instskip(NEXT) | instid1(VALU_DEP_2)
	v_add_co_u32 v17, vcc_lo, v10, v19
	v_add_co_ci_u32_e32 v18, vcc_lo, v18, v20, vcc_lo
	v_mov_b32_e32 v10, v11
	ds_store_b64 v0, v[17:18]
	ds_store_b64 v0, v[10:11]
.LBB4_1254:                             ;   in Loop: Header=BB4_1250 Depth=1
	s_or_b32 exec_lo, exec_lo, s10
	v_and_b32_e32 v10, 8, v30
	s_mov_b32 s11, -1
	s_mov_b32 s10, exec_lo
	s_delay_alu instid0(VALU_DEP_1)
	v_cmpx_ne_u32_e32 0, v10
	s_cbranch_execz .LBB4_1268
; %bb.1255:                             ;   in Loop: Header=BB4_1250 Depth=1
	v_add_co_u32 v19, vcc_lo, v34, 8
	s_waitcnt lgkmcnt(0)
	v_add_co_ci_u32_e32 v20, vcc_lo, 0, v35, vcc_lo
	v_add_co_u32 v17, vcc_lo, v8, 1
	v_add_co_ci_u32_e32 v18, vcc_lo, 0, v9, vcc_lo
	v_mov_b32_e32 v10, 1
	s_mov_b32 s11, exec_lo
	s_delay_alu instid0(VALU_DEP_2)
	v_cmpx_lt_u64_e64 v[19:20], v[17:18]
	s_cbranch_execz .LBB4_1267
; %bb.1256:                             ;   in Loop: Header=BB4_1250 Depth=1
	v_mov_b32_e32 v10, 0
	s_mov_b32 s20, 0
                                        ; implicit-def: $sgpr21
	s_branch .LBB4_1260
.LBB4_1257:                             ;   in Loop: Header=BB4_1260 Depth=2
	s_or_b32 exec_lo, exec_lo, s25
	v_mov_b32_e32 v19, 0
	s_or_not1_b32 s24, s24, exec_lo
.LBB4_1258:                             ;   in Loop: Header=BB4_1260 Depth=2
	s_or_b32 exec_lo, exec_lo, s23
	s_delay_alu instid0(VALU_DEP_1) | instskip(SKIP_2) | instid1(SALU_CYCLE_1)
	v_mov_b32_e32 v10, v19
	s_and_not1_b32 s21, s21, exec_lo
	s_and_b32 s23, s24, exec_lo
	s_or_b32 s21, s21, s23
.LBB4_1259:                             ;   in Loop: Header=BB4_1260 Depth=2
	s_or_b32 exec_lo, exec_lo, s22
	s_waitcnt vmcnt(0) lgkmcnt(0)
	v_add_co_u32 v19, vcc_lo, v34, 8
	v_add_co_ci_u32_e32 v20, vcc_lo, 0, v35, vcc_lo
	s_xor_b32 s22, s21, -1
	s_delay_alu instid0(VALU_DEP_1) | instskip(SKIP_1) | instid1(SALU_CYCLE_1)
	v_cmp_ge_u64_e32 vcc_lo, v[19:20], v[17:18]
	s_or_b32 s22, s22, vcc_lo
	s_and_b32 s22, exec_lo, s22
	s_delay_alu instid0(SALU_CYCLE_1) | instskip(NEXT) | instid1(SALU_CYCLE_1)
	s_or_b32 s20, s22, s20
	s_and_not1_b32 exec_lo, exec_lo, s20
	s_cbranch_execz .LBB4_1266
.LBB4_1260:                             ;   Parent Loop BB4_1250 Depth=1
                                        ; =>  This Inner Loop Header: Depth=2
	s_sleep 1
	flat_load_b64 v[34:35], v[28:29] glc
	v_and_b32_e32 v19, 64, v30
	s_and_not1_b32 s21, s21, exec_lo
	s_mov_b32 s22, exec_lo
	s_delay_alu instid0(VALU_DEP_1)
	v_cmpx_eq_u32_e32 0, v19
	s_cbranch_execz .LBB4_1259
; %bb.1261:                             ;   in Loop: Header=BB4_1260 Depth=2
	v_add_nc_u32_e32 v19, 1, v10
	s_mov_b32 s24, -1
	s_mov_b32 s23, exec_lo
	v_cmpx_lt_i32_e32 0x270e, v10
	s_cbranch_execz .LBB4_1258
; %bb.1262:                             ;   in Loop: Header=BB4_1260 Depth=2
	s_cbranch_execnz .LBB4_1523
; %bb.1263:                             ;   in Loop: Header=BB4_1260 Depth=2
	ds_load_b64 v[19:20], v0
	s_mov_b32 s25, exec_lo
	s_waitcnt vmcnt(0) lgkmcnt(0)
	s_waitcnt_vscnt null, 0x0
	flat_load_b32 v10, v[19:20] glc
	s_waitcnt vmcnt(0) lgkmcnt(0)
	buffer_gl1_inv
	buffer_gl0_inv
	v_cmpx_ne_u32_e32 0, v10
	s_cbranch_execz .LBB4_1257
; %bb.1264:                             ;   in Loop: Header=BB4_1260 Depth=2
	ds_store_b32 v0, v10
	s_cbranch_execnz .LBB4_1566
; %bb.1265:                             ;   in Loop: Header=BB4_1260 Depth=2
	v_or_b32_e32 v30, 64, v30
	s_xor_b32 s24, exec_lo, -1
	s_branch .LBB4_1257
.LBB4_1266:                             ;   in Loop: Header=BB4_1250 Depth=1
	s_or_b32 exec_lo, exec_lo, s20
	v_and_b32_e32 v10, 8, v30
.LBB4_1267:                             ;   in Loop: Header=BB4_1250 Depth=1
	s_or_b32 exec_lo, exec_lo, s11
	s_delay_alu instid0(VALU_DEP_1)
	v_cmp_eq_u32_e32 vcc_lo, 0, v10
	;;#ASMSTART
	s_wakeup
	;;#ASMEND
	s_or_not1_b32 s11, vcc_lo, exec_lo
.LBB4_1268:                             ;   in Loop: Header=BB4_1250 Depth=1
	s_or_b32 exec_lo, exec_lo, s10
	v_min_u32_e32 v21, v21, v16
	s_xor_b32 s10, s11, -1
	s_delay_alu instid0(SALU_CYCLE_1)
	s_and_saveexec_b32 s11, s10
	s_cbranch_execz .LBB4_1278
; %bb.1269:                             ;   in Loop: Header=BB4_1250 Depth=1
	v_and_b32_e32 v10, 0x100, v30
	s_waitcnt lgkmcnt(0)
	v_and_b32_e32 v22, 7, v8
	s_mov_b32 s10, -1
	s_mov_b32 s20, exec_lo
                                        ; implicit-def: $vgpr17_vgpr18
	v_cmpx_ne_u32_e32 0, v10
	s_cbranch_execz .LBB4_1273
; %bb.1270:                             ;   in Loop: Header=BB4_1250 Depth=1
	v_mad_u64_u32 v[19:20], null, v22, 24, v[6:7]
	v_lshlrev_b32_e32 v10, 1, v21
	flat_load_b32 v17, v[19:20]
	flat_store_b64 v[19:20], v[10:11] offset:8
	s_waitcnt vmcnt(0) lgkmcnt(1)
	v_cmp_ne_u32_e32 vcc_lo, 1, v17
	v_cmp_eq_u32_e64 s10, 1, v17
                                        ; implicit-def: $vgpr17_vgpr18
	s_delay_alu instid0(VALU_DEP_1)
	s_and_saveexec_b32 s21, s10
	s_cbranch_execz .LBB4_1272
; %bb.1271:                             ;   in Loop: Header=BB4_1250 Depth=1
	flat_load_b32 v17, v[19:20] offset:4 glc
	s_waitcnt vmcnt(0) lgkmcnt(0)
	v_ashrrev_i32_e32 v18, 31, v17
	s_delay_alu instid0(VALU_DEP_1)
	v_lshrrev_b64 v[17:18], 1, v[17:18]
.LBB4_1272:                             ;   in Loop: Header=BB4_1250 Depth=1
	s_or_b32 exec_lo, exec_lo, s21
	s_delay_alu instid0(SALU_CYCLE_1)
	s_or_not1_b32 s10, vcc_lo, exec_lo
.LBB4_1273:                             ;   in Loop: Header=BB4_1250 Depth=1
	s_or_b32 exec_lo, exec_lo, s20
	s_and_saveexec_b32 s20, s10
; %bb.1274:                             ;   in Loop: Header=BB4_1250 Depth=1
	v_mad_i64_i32 v[17:18], null, v22, v81, 0
; %bb.1275:                             ;   in Loop: Header=BB4_1250 Depth=1
	s_or_b32 exec_lo, exec_lo, s20
	s_delay_alu instid0(VALU_DEP_1) | instskip(SKIP_2) | instid1(VALU_DEP_2)
	v_lshlrev_b64 v[17:18], 1, v[17:18]
	v_and_b32_e32 v10, 0x2000, v30
	s_mov_b32 s10, exec_lo
	v_add_co_u32 v17, vcc_lo, v32, v17
	s_delay_alu instid0(VALU_DEP_3)
	v_add_co_ci_u32_e32 v18, vcc_lo, v33, v18, vcc_lo
	ds_store_b64 v0, v[17:18] offset:784
	v_cmpx_ne_u32_e32 0, v10
	s_cbranch_execz .LBB4_1277
; %bb.1276:                             ;   in Loop: Header=BB4_1250 Depth=1
	ds_load_b64 v[17:18], v0 offset:584
	s_waitcnt lgkmcnt(0)
	v_add_co_u32 v17, vcc_lo, v17, 1
	v_add_co_ci_u32_e32 v18, vcc_lo, 0, v18, vcc_lo
	ds_store_b64 v0, v[17:18] offset:584
.LBB4_1277:                             ;   in Loop: Header=BB4_1250 Depth=1
	s_or_b32 exec_lo, exec_lo, s10
	v_add_co_u32 v8, vcc_lo, v8, 1
	v_add_co_ci_u32_e32 v9, vcc_lo, 0, v9, vcc_lo
.LBB4_1278:                             ;   in Loop: Header=BB4_1250 Depth=1
	s_or_b32 exec_lo, exec_lo, s11
	s_and_saveexec_b32 s10, s2
	s_cbranch_execz .LBB4_1300
; %bb.1279:                             ;   in Loop: Header=BB4_1250 Depth=1
	s_and_saveexec_b32 s11, s3
	s_delay_alu instid0(SALU_CYCLE_1)
	s_xor_b32 s11, exec_lo, s11
	s_cbranch_execz .LBB4_1297
; %bb.1280:                             ;   in Loop: Header=BB4_1250 Depth=1
	s_and_saveexec_b32 s20, s4
	s_cbranch_execz .LBB4_1296
; %bb.1281:                             ;   in Loop: Header=BB4_1250 Depth=1
	s_mov_b32 s22, exec_lo
	s_mov_b32 s21, exec_lo
	v_mbcnt_lo_u32_b32 v10, s22, 0
	s_waitcnt lgkmcnt(0)
	s_waitcnt_vscnt null, 0x0
	buffer_gl1_inv
	buffer_gl0_inv
	v_cmpx_eq_u32_e32 0, v10
	s_cbranch_execz .LBB4_1283
; %bb.1282:                             ;   in Loop: Header=BB4_1250 Depth=1
	s_bcnt1_i32_b32 s22, s22
	s_delay_alu instid0(SALU_CYCLE_1)
	v_mov_b32_e32 v10, s22
	ds_add_u64 v0, v[10:11]
	s_cbranch_execnz .LBB4_1578
.LBB4_1283:                             ;   in Loop: Header=BB4_1250 Depth=1
	s_or_b32 exec_lo, exec_lo, s21
	s_cbranch_execnz .LBB4_1568
; %bb.1284:                             ;   in Loop: Header=BB4_1250 Depth=1
	ds_load_b64 v[17:18], v0
	v_add_co_u32 v36, vcc_lo, v36, v25
	v_add_co_ci_u32_e32 v37, vcc_lo, 0, v37, vcc_lo
	s_mov_b32 s21, exec_lo
	s_waitcnt lgkmcnt(0)
	s_delay_alu instid0(VALU_DEP_1)
	v_cmpx_lt_u64_e64 v[17:18], v[36:37]
	s_cbranch_execz .LBB4_1295
; %bb.1285:                             ;   in Loop: Header=BB4_1250 Depth=1
	s_mov_b32 s22, 0
	s_mov_b32 s25, 0
                                        ; implicit-def: $sgpr23
                                        ; implicit-def: $sgpr24
	s_branch .LBB4_1287
.LBB4_1286:                             ;   in Loop: Header=BB4_1287 Depth=2
	s_or_b32 exec_lo, exec_lo, s28
	s_delay_alu instid0(SALU_CYCLE_1) | instskip(NEXT) | instid1(SALU_CYCLE_1)
	s_and_b32 s26, exec_lo, s27
	s_or_b32 s22, s26, s22
	s_and_not1_b32 s23, s23, exec_lo
	s_and_b32 s26, s24, exec_lo
	s_delay_alu instid0(SALU_CYCLE_1)
	s_or_b32 s23, s23, s26
	s_and_not1_b32 exec_lo, exec_lo, s22
	s_cbranch_execz .LBB4_1293
.LBB4_1287:                             ;   Parent Loop BB4_1250 Depth=1
                                        ; =>  This Inner Loop Header: Depth=2
	s_add_i32 s25, s25, 1
                                        ; implicit-def: $sgpr27
	s_delay_alu instid0(SALU_CYCLE_1) | instskip(SKIP_1) | instid1(SALU_CYCLE_1)
	s_cmpk_lg_i32 s25, 0x2710
	s_cselect_b32 s26, -1, 0
	s_and_b32 vcc_lo, exec_lo, s26
	s_cbranch_vccz .LBB4_1291
.LBB4_1288:                             ;   in Loop: Header=BB4_1287 Depth=2
	s_and_not1_b32 s24, s24, exec_lo
	s_and_b32 s28, s27, exec_lo
	s_mov_b32 s27, -1
	s_or_b32 s24, s24, s28
	s_and_saveexec_b32 s28, s26
	s_cbranch_execz .LBB4_1286
; %bb.1289:                             ;   in Loop: Header=BB4_1287 Depth=2
	s_sleep 1
	s_cbranch_execnz .LBB4_1610
; %bb.1290:                             ;   in Loop: Header=BB4_1287 Depth=2
	ds_load_b64 v[17:18], v0
	s_and_not1_b32 s24, s24, exec_lo
	s_waitcnt lgkmcnt(0)
	v_cmp_ge_u64_e32 vcc_lo, v[17:18], v[36:37]
	s_or_not1_b32 s27, vcc_lo, exec_lo
	s_branch .LBB4_1286
.LBB4_1291:                             ;   in Loop: Header=BB4_1287 Depth=2
	s_cbranch_execnz .LBB4_1620
; %bb.1292:                             ;   in Loop: Header=BB4_1287 Depth=2
	ds_load_b64 v[17:18], v0
	s_and_not1_b32 s26, s26, exec_lo
	s_mov_b32 s25, 0
	s_mov_b32 s27, -1
	s_waitcnt lgkmcnt(0)
	flat_load_b32 v10, v[17:18] glc
	s_waitcnt vmcnt(0) lgkmcnt(0)
	buffer_gl1_inv
	buffer_gl0_inv
	v_cmp_eq_u32_e32 vcc_lo, 0, v10
	s_and_b32 s28, vcc_lo, exec_lo
	s_delay_alu instid0(SALU_CYCLE_1)
	s_or_b32 s26, s26, s28
	s_branch .LBB4_1288
.LBB4_1293:                             ;   in Loop: Header=BB4_1250 Depth=1
	s_or_b32 exec_lo, exec_lo, s22
	s_and_saveexec_b32 s22, s23
	s_delay_alu instid0(SALU_CYCLE_1)
	s_xor_b32 s22, exec_lo, s22
	s_cbranch_execz .LBB4_1295
; %bb.1294:                             ;   in Loop: Header=BB4_1250 Depth=1
	ds_store_b32 v0, v50
	s_cbranch_execnz .LBB4_1718
.LBB4_1295:                             ;   in Loop: Header=BB4_1250 Depth=1
	s_or_b32 exec_lo, exec_lo, s21
	;;#ASMSTART
	s_wakeup
	;;#ASMEND
.LBB4_1296:                             ;   in Loop: Header=BB4_1250 Depth=1
	s_or_b32 exec_lo, exec_lo, s20
.LBB4_1297:                             ;   in Loop: Header=BB4_1250 Depth=1
	s_and_not1_saveexec_b32 s11, s11
	s_cbranch_execz .LBB4_1299
; %bb.1298:                             ;   in Loop: Header=BB4_1250 Depth=1
	s_waitcnt lgkmcnt(0)
	s_waitcnt_vscnt null, 0x0
	buffer_gl1_inv
	buffer_gl0_inv
	s_barrier
.LBB4_1299:                             ;   in Loop: Header=BB4_1250 Depth=1
	s_or_b32 exec_lo, exec_lo, s11
.LBB4_1300:                             ;   in Loop: Header=BB4_1250 Depth=1
	s_delay_alu instid0(SALU_CYCLE_1)
	s_or_b32 exec_lo, exec_lo, s10
	s_cbranch_execnz .LBB4_1515
; %bb.1301:                             ;   in Loop: Header=BB4_1250 Depth=1
	ds_load_b32 v17, v0
	v_and_b32_e32 v10, 0x4000, v30
	s_delay_alu instid0(VALU_DEP_1) | instskip(SKIP_1) | instid1(SALU_CYCLE_1)
	v_cmp_ne_u32_e32 vcc_lo, 0, v10
	s_and_b32 s11, s17, vcc_lo
	s_and_saveexec_b32 s10, s11
	s_cbranch_execz .LBB4_1323
; %bb.1302:                             ;   in Loop: Header=BB4_1250 Depth=1
	s_and_saveexec_b32 s11, s3
	s_delay_alu instid0(SALU_CYCLE_1)
	s_xor_b32 s11, exec_lo, s11
	s_cbranch_execz .LBB4_1320
; %bb.1303:                             ;   in Loop: Header=BB4_1250 Depth=1
	s_and_saveexec_b32 s20, s4
	s_cbranch_execz .LBB4_1319
; %bb.1304:                             ;   in Loop: Header=BB4_1250 Depth=1
	s_mov_b32 s22, exec_lo
	s_mov_b32 s21, exec_lo
	v_mbcnt_lo_u32_b32 v10, s22, 0
	s_waitcnt lgkmcnt(0)
	s_waitcnt_vscnt null, 0x0
	buffer_gl1_inv
	buffer_gl0_inv
	v_cmpx_eq_u32_e32 0, v10
	s_cbranch_execz .LBB4_1306
; %bb.1305:                             ;   in Loop: Header=BB4_1250 Depth=1
	s_bcnt1_i32_b32 s22, s22
	s_delay_alu instid0(SALU_CYCLE_1)
	v_mov_b32_e32 v10, s22
	ds_add_u64 v0, v[10:11]
	s_cbranch_execnz .LBB4_1608
.LBB4_1306:                             ;   in Loop: Header=BB4_1250 Depth=1
	s_or_b32 exec_lo, exec_lo, s21
	s_cbranch_execnz .LBB4_1596
; %bb.1307:                             ;   in Loop: Header=BB4_1250 Depth=1
	ds_load_b64 v[18:19], v0
	v_add_co_u32 v36, vcc_lo, v36, v25
	v_add_co_ci_u32_e32 v37, vcc_lo, 0, v37, vcc_lo
	s_mov_b32 s21, exec_lo
	s_waitcnt lgkmcnt(0)
	s_delay_alu instid0(VALU_DEP_1)
	v_cmpx_lt_u64_e64 v[18:19], v[36:37]
	s_cbranch_execz .LBB4_1318
; %bb.1308:                             ;   in Loop: Header=BB4_1250 Depth=1
	s_mov_b32 s22, 0
	s_mov_b32 s25, 0
                                        ; implicit-def: $sgpr23
                                        ; implicit-def: $sgpr24
	s_branch .LBB4_1310
.LBB4_1309:                             ;   in Loop: Header=BB4_1310 Depth=2
	s_or_b32 exec_lo, exec_lo, s28
	s_delay_alu instid0(SALU_CYCLE_1) | instskip(NEXT) | instid1(SALU_CYCLE_1)
	s_and_b32 s26, exec_lo, s27
	s_or_b32 s22, s26, s22
	s_and_not1_b32 s23, s23, exec_lo
	s_and_b32 s26, s24, exec_lo
	s_delay_alu instid0(SALU_CYCLE_1)
	s_or_b32 s23, s23, s26
	s_and_not1_b32 exec_lo, exec_lo, s22
	s_cbranch_execz .LBB4_1316
.LBB4_1310:                             ;   Parent Loop BB4_1250 Depth=1
                                        ; =>  This Inner Loop Header: Depth=2
	s_add_i32 s25, s25, 1
                                        ; implicit-def: $sgpr27
	s_delay_alu instid0(SALU_CYCLE_1) | instskip(SKIP_1) | instid1(SALU_CYCLE_1)
	s_cmpk_lg_i32 s25, 0x2710
	s_cselect_b32 s26, -1, 0
	s_and_b32 vcc_lo, exec_lo, s26
	s_cbranch_vccz .LBB4_1314
.LBB4_1311:                             ;   in Loop: Header=BB4_1310 Depth=2
	s_and_not1_b32 s24, s24, exec_lo
	s_and_b32 s28, s27, exec_lo
	s_mov_b32 s27, -1
	s_or_b32 s24, s24, s28
	s_and_saveexec_b32 s28, s26
	s_cbranch_execz .LBB4_1309
; %bb.1312:                             ;   in Loop: Header=BB4_1310 Depth=2
	s_sleep 1
	s_cbranch_execnz .LBB4_1640
; %bb.1313:                             ;   in Loop: Header=BB4_1310 Depth=2
	ds_load_b64 v[18:19], v0
	s_and_not1_b32 s24, s24, exec_lo
	s_waitcnt lgkmcnt(0)
	v_cmp_ge_u64_e32 vcc_lo, v[18:19], v[36:37]
	s_or_not1_b32 s27, vcc_lo, exec_lo
	s_branch .LBB4_1309
.LBB4_1314:                             ;   in Loop: Header=BB4_1310 Depth=2
	s_cbranch_execnz .LBB4_1648
; %bb.1315:                             ;   in Loop: Header=BB4_1310 Depth=2
	ds_load_b64 v[18:19], v0
	s_and_not1_b32 s26, s26, exec_lo
	s_mov_b32 s25, 0
	s_mov_b32 s27, -1
	s_waitcnt lgkmcnt(0)
	flat_load_b32 v10, v[18:19] glc
	s_waitcnt vmcnt(0) lgkmcnt(0)
	buffer_gl1_inv
	buffer_gl0_inv
	v_cmp_eq_u32_e32 vcc_lo, 0, v10
	s_and_b32 s28, vcc_lo, exec_lo
	s_delay_alu instid0(SALU_CYCLE_1)
	s_or_b32 s26, s26, s28
	s_branch .LBB4_1311
.LBB4_1316:                             ;   in Loop: Header=BB4_1250 Depth=1
	s_or_b32 exec_lo, exec_lo, s22
	s_and_saveexec_b32 s22, s23
	s_delay_alu instid0(SALU_CYCLE_1)
	s_xor_b32 s22, exec_lo, s22
	s_cbranch_execz .LBB4_1318
; %bb.1317:                             ;   in Loop: Header=BB4_1250 Depth=1
	ds_store_b32 v0, v50
	s_cbranch_execnz .LBB4_1726
.LBB4_1318:                             ;   in Loop: Header=BB4_1250 Depth=1
	s_or_b32 exec_lo, exec_lo, s21
	;;#ASMSTART
	s_wakeup
	;;#ASMEND
.LBB4_1319:                             ;   in Loop: Header=BB4_1250 Depth=1
	s_or_b32 exec_lo, exec_lo, s20
.LBB4_1320:                             ;   in Loop: Header=BB4_1250 Depth=1
	s_and_not1_saveexec_b32 s11, s11
	s_cbranch_execz .LBB4_1322
; %bb.1321:                             ;   in Loop: Header=BB4_1250 Depth=1
	s_waitcnt lgkmcnt(0)
	s_waitcnt_vscnt null, 0x0
	buffer_gl1_inv
	buffer_gl0_inv
	s_barrier
.LBB4_1322:                             ;   in Loop: Header=BB4_1250 Depth=1
	s_or_b32 exec_lo, exec_lo, s11
.LBB4_1323:                             ;   in Loop: Header=BB4_1250 Depth=1
	s_delay_alu instid0(SALU_CYCLE_1)
	s_or_b32 exec_lo, exec_lo, s10
	s_cbranch_execnz .LBB4_1529
; %bb.1324:                             ;   in Loop: Header=BB4_1250 Depth=1
	ds_load_b64 v[18:19], v0
	s_waitcnt lgkmcnt(0)
	v_cmp_eq_u64_e32 vcc_lo, 0, v[18:19]
	s_or_b32 s10, vcc_lo, vcc_lo
	s_delay_alu instid0(SALU_CYCLE_1)
	s_and_b32 vcc_lo, exec_lo, s10
	s_mov_b32 s10, 0
	s_cbranch_vccnz .LBB4_1358
; %bb.1325:                             ;   in Loop: Header=BB4_1250 Depth=1
	s_mov_b32 s10, -1
	s_and_saveexec_b32 s11, s5
	s_cbranch_execz .LBB4_1327
; %bb.1326:                             ;   in Loop: Header=BB4_1250 Depth=1
	ds_load_b32 v10, v0 offset:720
	s_waitcnt lgkmcnt(0)
	v_and_b32_e32 v10, 15, v10
	s_delay_alu instid0(VALU_DEP_1)
	v_cmp_eq_u32_e32 vcc_lo, 0, v10
	s_or_not1_b32 s10, vcc_lo, exec_lo
.LBB4_1327:                             ;   in Loop: Header=BB4_1250 Depth=1
	s_or_b32 exec_lo, exec_lo, s11
	s_and_saveexec_b32 s11, s6
	s_cbranch_execz .LBB4_1329
; %bb.1328:                             ;   in Loop: Header=BB4_1250 Depth=1
	ds_load_b32 v10, v0 offset:784
	s_waitcnt lgkmcnt(0)
	v_and_b32_e32 v10, 15, v10
	s_delay_alu instid0(VALU_DEP_1) | instskip(SKIP_3) | instid1(SALU_CYCLE_1)
	v_cmp_eq_u32_e32 vcc_lo, 0, v10
	s_and_b32 s20, s10, vcc_lo
	s_and_not1_b32 s10, s10, exec_lo
	s_and_b32 s20, s20, exec_lo
	s_or_b32 s10, s10, s20
.LBB4_1329:                             ;   in Loop: Header=BB4_1250 Depth=1
	s_or_b32 exec_lo, exec_lo, s11
	v_cmp_eq_u32_e32 vcc_lo, 0, v17
	s_xor_b32 s10, s10, -1
	v_mov_b32_e32 v23, 0
	v_cndmask_b32_e64 v18, 0, 1, s10
	;;#ASMSTART
	;;#ASMEND
	v_cndmask_b32_e32 v10, 0, v21, vcc_lo
	s_delay_alu instid0(VALU_DEP_2) | instskip(SKIP_1) | instid1(VALU_DEP_2)
	v_cmp_ne_u32_e32 vcc_lo, 0, v18
	s_mov_b32 s10, -1
	v_lshlrev_b32_e32 v22, 1, v10
	s_cbranch_vccz .LBB4_1331
; %bb.1330:                             ;   in Loop: Header=BB4_1250 Depth=1
	v_mov_b32_e32 v51, v0
	v_mov_b32_e32 v85, v52
	s_branch .LBB4_1346
.LBB4_1331:                             ;   in Loop: Header=BB4_1250 Depth=1
	v_lshrrev_b32_e32 v23, 10, v10
	s_mov_b32 s11, exec_lo
	s_delay_alu instid0(VALU_DEP_1) | instskip(NEXT) | instid1(VALU_DEP_1)
	v_sub_nc_u32_e32 v82, v23, v52
	v_cmpx_lt_i32_e32 0, v82
	s_cbranch_execz .LBB4_1336
; %bb.1332:                             ;   in Loop: Header=BB4_1250 Depth=1
	s_cbranch_execnz .LBB4_1624
; %bb.1333:                             ;   in Loop: Header=BB4_1250 Depth=1
	ds_load_b64 v[17:18], v0
	s_mov_b32 s20, 0
	s_waitcnt lgkmcnt(0)
	v_dual_mov_b32 v20, v18 :: v_dual_mov_b32 v19, v17
	s_set_inst_prefetch_distance 0x1
.LBB4_1334:                             ;   Parent Loop BB4_1250 Depth=1
                                        ; =>  This Inner Loop Header: Depth=2
	s_delay_alu instid0(VALU_DEP_1) | instskip(NEXT) | instid1(VALU_DEP_2)
	v_add_co_u32 v112, vcc_lo, v64, v19
	v_add_co_ci_u32_e32 v113, vcc_lo, v67, v20, vcc_lo
	v_add_co_u32 v116, vcc_lo, v64, v17
	v_sub_nc_u32_e32 v82, v82, v25
	s_clause 0x3
	global_load_b128 v[83:86], v[112:113], off slc dlc
	global_load_b128 v[96:99], v[112:113], off offset:512 slc dlc
	global_load_b128 v[100:103], v[112:113], off offset:1024 slc dlc
	;; [unrolled: 1-line block ×3, first 2 shown]
	v_add_co_ci_u32_e32 v117, vcc_lo, v67, v18, vcc_lo
	v_add_co_u32 v19, vcc_lo, v19, v65
	v_add_co_ci_u32_e32 v20, vcc_lo, v20, v66, vcc_lo
	v_add_co_u32 v17, vcc_lo, v17, v65
	v_cmp_gt_i32_e64 s10, 1, v82
	v_add_co_ci_u32_e32 v18, vcc_lo, v18, v66, vcc_lo
	s_waitcnt vmcnt(3)
	global_store_b128 v[116:117], v[83:86], off glc slc dlc
	s_waitcnt vmcnt(2)
	global_store_b128 v[116:117], v[96:99], off offset:512 glc slc dlc
	s_waitcnt vmcnt(1)
	global_store_b128 v[116:117], v[100:103], off offset:1024 glc slc dlc
	s_waitcnt vmcnt(0)
	global_store_b128 v[116:117], v[112:115], off offset:1536 glc slc dlc
	s_or_b32 s20, s10, s20
	s_delay_alu instid0(SALU_CYCLE_1)
	s_and_not1_b32 exec_lo, exec_lo, s20
	s_cbranch_execnz .LBB4_1334
; %bb.1335:                             ;   in Loop: Header=BB4_1250 Depth=1
	s_set_inst_prefetch_distance 0x2
	s_or_b32 exec_lo, exec_lo, s20
.LBB4_1336:                             ;   in Loop: Header=BB4_1250 Depth=1
	s_delay_alu instid0(SALU_CYCLE_1) | instskip(SKIP_4) | instid1(VALU_DEP_2)
	s_or_b32 exec_lo, exec_lo, s11
	v_lshlrev_b32_e32 v19, 11, v23
	v_mov_b32_e32 v23, 0
	s_mov_b32 s10, 0
	s_mov_b32 s20, exec_lo
                                        ; implicit-def: $vgpr51
                                        ; implicit-def: $vgpr85
	v_cmpx_ne_u32_e64 v22, v19
	s_cbranch_execz .LBB4_1345
; %bb.1337:                             ;   in Loop: Header=BB4_1250 Depth=1
	v_lshlrev_b32_e32 v17, 5, v82
	v_sub_nc_u32_e32 v23, v22, v19
	s_mov_b32 s21, exec_lo
	s_delay_alu instid0(VALU_DEP_2) | instskip(NEXT) | instid1(VALU_DEP_2)
	v_sub_nc_u32_e32 v17, v54, v17
	v_ashrrev_i32_e32 v20, 31, v23
	s_delay_alu instid0(VALU_DEP_2) | instskip(NEXT) | instid1(VALU_DEP_2)
	v_ashrrev_i32_e32 v18, 31, v17
	v_lshrrev_b32_e32 v20, 23, v20
	s_delay_alu instid0(VALU_DEP_2) | instskip(NEXT) | instid1(VALU_DEP_2)
	v_lshrrev_b32_e32 v18, 27, v18
	v_add_nc_u32_e32 v84, v23, v20
	s_delay_alu instid0(VALU_DEP_2) | instskip(NEXT) | instid1(VALU_DEP_2)
	v_add_nc_u32_e32 v18, v17, v18
	v_and_b32_e32 v20, 0xfffffe00, v84
	v_ashrrev_i32_e32 v84, 9, v84
	s_delay_alu instid0(VALU_DEP_3) | instskip(NEXT) | instid1(VALU_DEP_3)
	v_and_b32_e32 v51, 0xffffffe0, v18
	v_sub_nc_u32_e32 v83, v23, v20
	s_delay_alu instid0(VALU_DEP_2) | instskip(SKIP_1) | instid1(VALU_DEP_3)
	v_sub_nc_u32_e32 v82, v17, v51
	v_ashrrev_i32_e32 v17, 5, v18
	v_cmp_lt_i32_e32 vcc_lo, 15, v83
	s_delay_alu instid0(VALU_DEP_3) | instskip(NEXT) | instid1(VALU_DEP_1)
	v_lshlrev_b32_e32 v18, 4, v82
	v_lshl_add_u32 v51, v17, 9, v18
	v_add_co_ci_u32_e64 v18, s10, 0, v84, vcc_lo
	s_delay_alu instid0(VALU_DEP_2) | instskip(NEXT) | instid1(VALU_DEP_2)
	v_sub_nc_u32_e32 v23, v23, v51
	v_sub_nc_u32_e32 v84, v18, v17
	s_delay_alu instid0(VALU_DEP_2)
	v_cmpx_lt_i32_e32 15, v23
	s_cbranch_execz .LBB4_1342
; %bb.1338:                             ;   in Loop: Header=BB4_1250 Depth=1
	s_cbranch_execnz .LBB4_1666
; %bb.1339:                             ;   in Loop: Header=BB4_1250 Depth=1
	ds_load_b64 v[17:18], v0
	v_add_nc_u32_e32 v51, v51, v19
	s_mov_b32 s22, 0
	s_delay_alu instid0(VALU_DEP_1)
	v_ashrrev_i32_e32 v85, 31, v51
.LBB4_1340:                             ;   Parent Loop BB4_1250 Depth=1
                                        ; =>  This Inner Loop Header: Depth=2
	s_waitcnt lgkmcnt(0)
	v_add_co_u32 v86, s10, v17, v51
	s_delay_alu instid0(VALU_DEP_1)
	v_add_co_ci_u32_e64 v87, s10, v18, v85, s10
	v_sub_nc_u32_e32 v23, v23, v53
	v_add_co_u32 v51, s11, v51, v68
	global_load_b128 v[96:99], v[86:87], off slc dlc
	v_sub_nc_u32_e32 v84, v84, v25
	v_cmp_gt_i32_e64 s10, 16, v23
	v_add_co_ci_u32_e64 v85, s11, v85, v69, s11
	s_delay_alu instid0(VALU_DEP_2)
	s_or_b32 s22, s10, s22
	s_waitcnt vmcnt(0)
	global_store_b128 v[86:87], v[96:99], off glc slc dlc
	s_and_not1_b32 exec_lo, exec_lo, s22
	s_cbranch_execnz .LBB4_1340
; %bb.1341:                             ;   in Loop: Header=BB4_1250 Depth=1
	s_or_b32 exec_lo, exec_lo, s22
.LBB4_1342:                             ;   in Loop: Header=BB4_1250 Depth=1
	s_delay_alu instid0(SALU_CYCLE_1) | instskip(SKIP_3) | instid1(VALU_DEP_1)
	s_or_b32 exec_lo, exec_lo, s21
	v_and_b32_e32 v17, 14, v22
	s_mov_b32 s11, 0
	s_mov_b32 s21, exec_lo
                                        ; implicit-def: $vgpr51
                                        ; implicit-def: $vgpr85
	v_dual_mov_b32 v23, 0 :: v_dual_cndmask_b32 v22, v83, v17
	s_delay_alu instid0(VALU_DEP_1)
	v_cmpx_ne_u32_e32 0, v22
; %bb.1343:                             ;   in Loop: Header=BB4_1250 Depth=1
	v_cmp_lt_i32_e64 s10, 0, v84
	v_sub_nc_u32_e32 v17, v83, v17
	s_mov_b32 s11, exec_lo
	s_delay_alu instid0(VALU_DEP_2) | instskip(NEXT) | instid1(VALU_DEP_1)
	v_cndmask_b32_e64 v18, 0, v25, s10
	v_sub_nc_u32_e32 v18, v18, v84
	s_delay_alu instid0(VALU_DEP_1) | instskip(NEXT) | instid1(VALU_DEP_1)
	v_lshl_add_u32 v51, v18, 5, v82
	v_ashrrev_i32_e32 v18, 31, v51
	s_delay_alu instid0(VALU_DEP_1) | instskip(NEXT) | instid1(VALU_DEP_1)
	v_lshrrev_b32_e32 v18, 27, v18
	v_dual_cndmask_b32 v17, 0, v17 :: v_dual_add_nc_u32 v18, v51, v18
	s_delay_alu instid0(VALU_DEP_1) | instskip(NEXT) | instid1(VALU_DEP_2)
	v_add3_u32 v23, v20, v19, v17
	v_ashrrev_i32_e32 v85, 5, v18
; %bb.1344:                             ;   in Loop: Header=BB4_1250 Depth=1
	s_or_b32 exec_lo, exec_lo, s21
	s_delay_alu instid0(SALU_CYCLE_1)
	s_and_b32 s10, s11, exec_lo
.LBB4_1345:                             ;   in Loop: Header=BB4_1250 Depth=1
	s_or_b32 exec_lo, exec_lo, s20
.LBB4_1346:                             ;   in Loop: Header=BB4_1250 Depth=1
	s_and_saveexec_b32 s11, s10
	s_cbranch_execz .LBB4_1357
; %bb.1347:                             ;   in Loop: Header=BB4_1250 Depth=1
	v_ashrrev_i32_e32 v17, 31, v22
	s_mov_b32 s10, exec_lo
	s_delay_alu instid0(VALU_DEP_1) | instskip(NEXT) | instid1(VALU_DEP_1)
	v_lshrrev_b32_e32 v17, 23, v17
	v_add_nc_u32_e32 v17, v22, v17
	s_delay_alu instid0(VALU_DEP_1) | instskip(NEXT) | instid1(VALU_DEP_1)
	v_ashrrev_i32_e32 v83, 9, v17
	v_sub_nc_u32_e32 v82, v83, v85
	s_delay_alu instid0(VALU_DEP_1)
	v_cmpx_lt_i32_e32 0, v82
	s_cbranch_execz .LBB4_1352
; %bb.1348:                             ;   in Loop: Header=BB4_1250 Depth=1
	s_cbranch_execnz .LBB4_1612
; %bb.1349:                             ;   in Loop: Header=BB4_1250 Depth=1
	v_ashrrev_i32_e32 v17, 31, v51
	s_mov_b32 s20, 0
	s_delay_alu instid0(VALU_DEP_1) | instskip(NEXT) | instid1(VALU_DEP_1)
	v_lshrrev_b32_e32 v17, 27, v17
	v_add_nc_u32_e32 v17, v51, v17
	s_delay_alu instid0(VALU_DEP_1) | instskip(SKIP_3) | instid1(VALU_DEP_1)
	v_and_b32_e32 v19, 0x7fffffe0, v17
	ds_load_b64 v[17:18], v0
	v_lshlrev_b32_e32 v20, 9, v85
	v_sub_nc_u32_e32 v19, v51, v19
	v_lshlrev_b32_e32 v19, 1, v19
	s_delay_alu instid0(VALU_DEP_1) | instskip(NEXT) | instid1(VALU_DEP_1)
	v_add3_u32 v84, v19, v23, v20
	v_ashrrev_i32_e32 v85, 31, v84
	s_waitcnt lgkmcnt(0)
	v_dual_mov_b32 v20, v18 :: v_dual_mov_b32 v19, v17
.LBB4_1350:                             ;   Parent Loop BB4_1250 Depth=1
                                        ; =>  This Inner Loop Header: Depth=2
	s_delay_alu instid0(VALU_DEP_1) | instskip(NEXT) | instid1(VALU_DEP_2)
	v_add_co_u32 v86, vcc_lo, v84, v19
	v_add_co_ci_u32_e32 v87, vcc_lo, v85, v20, vcc_lo
	v_sub_nc_u32_e32 v82, v82, v25
	s_clause 0x7
	flat_load_u16 v96, v[86:87] slc dlc
	flat_load_u16 v97, v[86:87] offset:64 slc dlc
	flat_load_u16 v98, v[86:87] offset:128 slc dlc
	;; [unrolled: 1-line block ×7, first 2 shown]
	v_add_co_u32 v86, vcc_lo, v84, v17
	v_add_co_ci_u32_e32 v87, vcc_lo, v85, v18, vcc_lo
	v_add_co_u32 v19, vcc_lo, v19, v68
	v_add_co_ci_u32_e32 v20, vcc_lo, v20, v69, vcc_lo
	v_add_co_u32 v17, vcc_lo, v17, v68
	v_add_co_ci_u32_e32 v18, vcc_lo, v18, v69, vcc_lo
	v_cmp_gt_i32_e32 vcc_lo, 1, v82
	s_waitcnt vmcnt(7) lgkmcnt(7)
	flat_store_b16 v[86:87], v96 glc slc dlc
	s_waitcnt vmcnt(6) lgkmcnt(7)
	flat_store_b16 v[86:87], v97 offset:64 glc slc dlc
	s_waitcnt vmcnt(5) lgkmcnt(7)
	flat_store_b16 v[86:87], v98 offset:128 glc slc dlc
	;; [unrolled: 2-line block ×7, first 2 shown]
	s_or_b32 s20, vcc_lo, s20
	s_delay_alu instid0(SALU_CYCLE_1)
	s_and_not1_b32 exec_lo, exec_lo, s20
	s_cbranch_execnz .LBB4_1350
; %bb.1351:                             ;   in Loop: Header=BB4_1250 Depth=1
	s_or_b32 exec_lo, exec_lo, s20
.LBB4_1352:                             ;   in Loop: Header=BB4_1250 Depth=1
	s_delay_alu instid0(SALU_CYCLE_1) | instskip(SKIP_1) | instid1(VALU_DEP_1)
	s_or_b32 exec_lo, exec_lo, s10
	v_lshlrev_b32_e32 v17, 9, v83
	v_cmp_ne_u32_e32 vcc_lo, v22, v17
	s_and_b32 exec_lo, exec_lo, vcc_lo
	s_cbranch_execz .LBB4_1357
; %bb.1353:                             ;   in Loop: Header=BB4_1250 Depth=1
	v_ashrrev_i32_e32 v18, 31, v51
	v_lshlrev_b32_e32 v19, 5, v82
	s_delay_alu instid0(VALU_DEP_2) | instskip(NEXT) | instid1(VALU_DEP_1)
	v_lshrrev_b32_e32 v18, 27, v18
	v_add_nc_u32_e32 v18, v51, v18
	s_delay_alu instid0(VALU_DEP_1) | instskip(NEXT) | instid1(VALU_DEP_1)
	v_and_b32_e32 v18, 0xffffffe0, v18
	v_sub_nc_u32_e32 v18, v51, v18
	s_delay_alu instid0(VALU_DEP_1) | instskip(NEXT) | instid1(VALU_DEP_1)
	v_sub_nc_u32_e32 v18, v18, v19
	v_ashrrev_i32_e32 v19, 31, v18
	s_delay_alu instid0(VALU_DEP_1) | instskip(NEXT) | instid1(VALU_DEP_1)
	v_lshrrev_b32_e32 v19, 27, v19
	v_add_nc_u32_e32 v19, v18, v19
	s_delay_alu instid0(VALU_DEP_1) | instskip(SKIP_1) | instid1(VALU_DEP_2)
	v_and_b32_e32 v20, 0x7fffffe0, v19
	v_lshlrev_b32_e32 v19, 1, v19
	v_sub_nc_u32_e32 v18, v18, v20
	s_delay_alu instid0(VALU_DEP_2) | instskip(NEXT) | instid1(VALU_DEP_2)
	v_and_b32_e32 v19, 0xffffffc0, v19
	v_lshlrev_b32_e32 v18, 1, v18
	s_delay_alu instid0(VALU_DEP_1) | instskip(NEXT) | instid1(VALU_DEP_1)
	v_add3_u32 v20, v19, v18, v17
	v_sub_nc_u32_e32 v19, v22, v20
	s_delay_alu instid0(VALU_DEP_1)
	v_cmp_lt_i32_e32 vcc_lo, 1, v19
	s_and_b32 exec_lo, exec_lo, vcc_lo
	s_cbranch_execz .LBB4_1357
; %bb.1354:                             ;   in Loop: Header=BB4_1250 Depth=1
	s_cbranch_execnz .LBB4_1652
; %bb.1355:                             ;   in Loop: Header=BB4_1250 Depth=1
	ds_load_b64 v[17:18], v0
	v_add_nc_u32_e32 v20, v20, v23
	s_mov_b32 s20, 0
	s_delay_alu instid0(VALU_DEP_1)
	v_ashrrev_i32_e32 v22, 31, v20
.LBB4_1356:                             ;   Parent Loop BB4_1250 Depth=1
                                        ; =>  This Inner Loop Header: Depth=2
	s_waitcnt lgkmcnt(0)
	v_add_co_u32 v82, vcc_lo, v17, v20
	s_delay_alu instid0(VALU_DEP_2)
	v_add_co_ci_u32_e32 v83, vcc_lo, v18, v22, vcc_lo
	v_sub_nc_u32_e32 v19, v19, v55
	v_add_co_u32 v20, s10, v20, v70
	flat_load_u16 v23, v[82:83] slc dlc
	v_add_co_ci_u32_e64 v22, s10, v22, v71, s10
	v_cmp_gt_i32_e32 vcc_lo, 2, v19
	s_or_b32 s20, vcc_lo, s20
	s_waitcnt vmcnt(0) lgkmcnt(0)
	flat_store_b16 v[82:83], v23 glc slc dlc
	s_and_not1_b32 exec_lo, exec_lo, s20
	s_cbranch_execnz .LBB4_1356
.LBB4_1357:                             ;   in Loop: Header=BB4_1250 Depth=1
	s_or_b32 exec_lo, exec_lo, s11
	v_cmp_ne_u32_e64 s10, 0, v10
.LBB4_1358:                             ;   in Loop: Header=BB4_1250 Depth=1
	s_and_saveexec_b32 s11, s2
	s_cbranch_execz .LBB4_1380
; %bb.1359:                             ;   in Loop: Header=BB4_1250 Depth=1
	s_and_saveexec_b32 s20, s3
	s_delay_alu instid0(SALU_CYCLE_1)
	s_xor_b32 s20, exec_lo, s20
	s_cbranch_execz .LBB4_1377
; %bb.1360:                             ;   in Loop: Header=BB4_1250 Depth=1
	s_and_saveexec_b32 s21, s4
	s_cbranch_execz .LBB4_1376
; %bb.1361:                             ;   in Loop: Header=BB4_1250 Depth=1
	s_mov_b32 s23, exec_lo
	s_mov_b32 s22, exec_lo
	v_mbcnt_lo_u32_b32 v10, s23, 0
	s_waitcnt lgkmcnt(0)
	s_waitcnt_vscnt null, 0x0
	buffer_gl1_inv
	buffer_gl0_inv
	v_cmpx_eq_u32_e32 0, v10
	s_cbranch_execz .LBB4_1363
; %bb.1362:                             ;   in Loop: Header=BB4_1250 Depth=1
	s_bcnt1_i32_b32 s23, s23
	s_delay_alu instid0(SALU_CYCLE_1)
	v_mov_b32_e32 v10, s23
	ds_add_u64 v0, v[10:11]
	s_cbranch_execnz .LBB4_1642
.LBB4_1363:                             ;   in Loop: Header=BB4_1250 Depth=1
	s_or_b32 exec_lo, exec_lo, s22
	s_cbranch_execnz .LBB4_1628
; %bb.1364:                             ;   in Loop: Header=BB4_1250 Depth=1
	ds_load_b64 v[17:18], v0
	v_add_co_u32 v36, vcc_lo, v36, v25
	v_add_co_ci_u32_e32 v37, vcc_lo, 0, v37, vcc_lo
	s_mov_b32 s22, exec_lo
	s_waitcnt lgkmcnt(0)
	s_delay_alu instid0(VALU_DEP_1)
	v_cmpx_lt_u64_e64 v[17:18], v[36:37]
	s_cbranch_execz .LBB4_1375
; %bb.1365:                             ;   in Loop: Header=BB4_1250 Depth=1
	s_mov_b32 s23, 0
	s_mov_b32 s26, 0
                                        ; implicit-def: $sgpr24
                                        ; implicit-def: $sgpr25
	s_branch .LBB4_1367
.LBB4_1366:                             ;   in Loop: Header=BB4_1367 Depth=2
	s_or_b32 exec_lo, exec_lo, s29
	s_delay_alu instid0(SALU_CYCLE_1) | instskip(NEXT) | instid1(SALU_CYCLE_1)
	s_and_b32 s27, exec_lo, s28
	s_or_b32 s23, s27, s23
	s_and_not1_b32 s24, s24, exec_lo
	s_and_b32 s27, s25, exec_lo
	s_delay_alu instid0(SALU_CYCLE_1)
	s_or_b32 s24, s24, s27
	s_and_not1_b32 exec_lo, exec_lo, s23
	s_cbranch_execz .LBB4_1373
.LBB4_1367:                             ;   Parent Loop BB4_1250 Depth=1
                                        ; =>  This Inner Loop Header: Depth=2
	s_add_i32 s26, s26, 1
                                        ; implicit-def: $sgpr28
	s_delay_alu instid0(SALU_CYCLE_1) | instskip(SKIP_1) | instid1(SALU_CYCLE_1)
	s_cmpk_lg_i32 s26, 0x2710
	s_cselect_b32 s27, -1, 0
	s_and_b32 vcc_lo, exec_lo, s27
	s_cbranch_vccz .LBB4_1371
.LBB4_1368:                             ;   in Loop: Header=BB4_1367 Depth=2
	s_and_not1_b32 s25, s25, exec_lo
	s_and_b32 s29, s28, exec_lo
	s_mov_b32 s28, -1
	s_or_b32 s25, s25, s29
	s_and_saveexec_b32 s29, s27
	s_cbranch_execz .LBB4_1366
; %bb.1369:                             ;   in Loop: Header=BB4_1367 Depth=2
	s_sleep 1
	s_cbranch_execnz .LBB4_1686
; %bb.1370:                             ;   in Loop: Header=BB4_1367 Depth=2
	ds_load_b64 v[17:18], v0
	s_and_not1_b32 s25, s25, exec_lo
	s_waitcnt lgkmcnt(0)
	v_cmp_ge_u64_e32 vcc_lo, v[17:18], v[36:37]
	s_or_not1_b32 s28, vcc_lo, exec_lo
	s_branch .LBB4_1366
.LBB4_1371:                             ;   in Loop: Header=BB4_1367 Depth=2
	s_cbranch_execnz .LBB4_1698
; %bb.1372:                             ;   in Loop: Header=BB4_1367 Depth=2
	ds_load_b64 v[17:18], v0
	s_and_not1_b32 s27, s27, exec_lo
	s_mov_b32 s26, 0
	s_mov_b32 s28, -1
	s_waitcnt lgkmcnt(0)
	flat_load_b32 v10, v[17:18] glc
	s_waitcnt vmcnt(0) lgkmcnt(0)
	buffer_gl1_inv
	buffer_gl0_inv
	v_cmp_eq_u32_e32 vcc_lo, 0, v10
	s_and_b32 s29, vcc_lo, exec_lo
	s_delay_alu instid0(SALU_CYCLE_1)
	s_or_b32 s27, s27, s29
	s_branch .LBB4_1368
.LBB4_1373:                             ;   in Loop: Header=BB4_1250 Depth=1
	s_or_b32 exec_lo, exec_lo, s23
	s_and_saveexec_b32 s23, s24
	s_delay_alu instid0(SALU_CYCLE_1)
	s_xor_b32 s23, exec_lo, s23
	s_cbranch_execz .LBB4_1375
; %bb.1374:                             ;   in Loop: Header=BB4_1250 Depth=1
	ds_store_b32 v0, v50
	s_cbranch_execnz .LBB4_1736
.LBB4_1375:                             ;   in Loop: Header=BB4_1250 Depth=1
	s_or_b32 exec_lo, exec_lo, s22
	;;#ASMSTART
	s_wakeup
	;;#ASMEND
.LBB4_1376:                             ;   in Loop: Header=BB4_1250 Depth=1
	s_or_b32 exec_lo, exec_lo, s21
.LBB4_1377:                             ;   in Loop: Header=BB4_1250 Depth=1
	s_and_not1_saveexec_b32 s20, s20
	s_cbranch_execz .LBB4_1379
; %bb.1378:                             ;   in Loop: Header=BB4_1250 Depth=1
	s_waitcnt lgkmcnt(0)
	s_waitcnt_vscnt null, 0x0
	buffer_gl1_inv
	buffer_gl0_inv
	s_barrier
.LBB4_1379:                             ;   in Loop: Header=BB4_1250 Depth=1
	s_or_b32 exec_lo, exec_lo, s20
.LBB4_1380:                             ;   in Loop: Header=BB4_1250 Depth=1
	s_delay_alu instid0(SALU_CYCLE_1) | instskip(SKIP_1) | instid1(VALU_DEP_1)
	s_or_b32 exec_lo, exec_lo, s11
	v_and_b32_e32 v10, 16, v30
	v_cmp_ne_u32_e32 vcc_lo, 0, v10
	s_and_b32 s11, vcc_lo, s10
	s_delay_alu instid0(SALU_CYCLE_1)
	s_and_saveexec_b32 s10, s11
	s_cbranch_execz .LBB4_1382
; %bb.1381:                             ;   in Loop: Header=BB4_1250 Depth=1
	s_waitcnt lgkmcnt(0)
	s_waitcnt_vscnt null, 0x0
	buffer_gl1_inv
	buffer_gl0_inv
.LBB4_1382:                             ;   in Loop: Header=BB4_1250 Depth=1
	s_or_b32 exec_lo, exec_lo, s10
	s_delay_alu instid0(SALU_CYCLE_1)
	s_mov_b32 s10, exec_lo
	v_cmpx_ne_u32_e32 0, v10
	s_cbranch_execz .LBB4_1386
; %bb.1383:                             ;   in Loop: Header=BB4_1250 Depth=1
	s_and_saveexec_b32 s11, s7
	s_cbranch_execz .LBB4_1385
; %bb.1384:                             ;   in Loop: Header=BB4_1250 Depth=1
	s_waitcnt lgkmcnt(0)
	s_waitcnt_vscnt null, 0x0
	flat_store_b32 v[48:49], v50
.LBB4_1385:                             ;   in Loop: Header=BB4_1250 Depth=1
	s_or_b32 exec_lo, exec_lo, s11
	v_add_co_u32 v8, vcc_lo, v8, 1
	v_add_co_ci_u32_e32 v9, vcc_lo, 0, v9, vcc_lo
	s_waitcnt lgkmcnt(0)
	s_waitcnt_vscnt null, 0x0
	flat_store_b64 v[28:29], v[8:9]
.LBB4_1386:                             ;   in Loop: Header=BB4_1250 Depth=1
	s_or_b32 exec_lo, exec_lo, s10
	v_mov_b32_e32 v10, v21
.LBB4_1387:                             ;   in Loop: Header=BB4_1250 Depth=1
	s_or_b32 exec_lo, exec_lo, s19
	s_and_saveexec_b32 s11, s18
	s_cbranch_execz .LBB4_1444
; %bb.1388:                             ;   in Loop: Header=BB4_1250 Depth=1
	v_and_b32_e32 v17, 8, v30
	s_mov_b32 s18, -1
	s_mov_b32 s10, exec_lo
	s_delay_alu instid0(VALU_DEP_1)
	v_cmpx_ne_u32_e32 0, v17
	s_cbranch_execz .LBB4_1402
; %bb.1389:                             ;   in Loop: Header=BB4_1250 Depth=1
	v_add_co_u32 v19, vcc_lo, v34, 8
	s_waitcnt lgkmcnt(0)
	v_add_co_ci_u32_e32 v20, vcc_lo, 0, v35, vcc_lo
	v_add_co_u32 v17, vcc_lo, v8, 1
	v_add_co_ci_u32_e32 v18, vcc_lo, 0, v9, vcc_lo
	s_delay_alu instid0(VALU_DEP_1)
	v_cmp_lt_u64_e32 vcc_lo, v[19:20], v[17:18]
	v_mov_b32_e32 v19, 1
	s_and_saveexec_b32 s18, vcc_lo
	s_cbranch_execz .LBB4_1401
; %bb.1390:                             ;   in Loop: Header=BB4_1250 Depth=1
	v_mov_b32_e32 v19, 0
	s_mov_b32 s19, 0
                                        ; implicit-def: $sgpr20
	s_branch .LBB4_1394
.LBB4_1391:                             ;   in Loop: Header=BB4_1394 Depth=2
	s_or_b32 exec_lo, exec_lo, s24
	v_mov_b32_e32 v20, 0
	s_or_not1_b32 s23, s23, exec_lo
.LBB4_1392:                             ;   in Loop: Header=BB4_1394 Depth=2
	s_or_b32 exec_lo, exec_lo, s22
	s_delay_alu instid0(VALU_DEP_1) | instskip(SKIP_2) | instid1(SALU_CYCLE_1)
	v_mov_b32_e32 v19, v20
	s_and_not1_b32 s20, s20, exec_lo
	s_and_b32 s22, s23, exec_lo
	s_or_b32 s20, s20, s22
.LBB4_1393:                             ;   in Loop: Header=BB4_1394 Depth=2
	s_or_b32 exec_lo, exec_lo, s21
	s_waitcnt vmcnt(0) lgkmcnt(0)
	v_add_co_u32 v22, vcc_lo, v34, 8
	v_add_co_ci_u32_e32 v23, vcc_lo, 0, v35, vcc_lo
	s_xor_b32 s21, s20, -1
	s_delay_alu instid0(VALU_DEP_1) | instskip(SKIP_1) | instid1(SALU_CYCLE_1)
	v_cmp_ge_u64_e32 vcc_lo, v[22:23], v[17:18]
	s_or_b32 s21, s21, vcc_lo
	s_and_b32 s21, exec_lo, s21
	s_delay_alu instid0(SALU_CYCLE_1) | instskip(NEXT) | instid1(SALU_CYCLE_1)
	s_or_b32 s19, s21, s19
	s_and_not1_b32 exec_lo, exec_lo, s19
	s_cbranch_execz .LBB4_1400
.LBB4_1394:                             ;   Parent Loop BB4_1250 Depth=1
                                        ; =>  This Inner Loop Header: Depth=2
	s_sleep 1
	flat_load_b64 v[34:35], v[28:29] glc
	v_and_b32_e32 v20, 64, v30
	s_and_not1_b32 s20, s20, exec_lo
	s_mov_b32 s21, exec_lo
	s_delay_alu instid0(VALU_DEP_1)
	v_cmpx_eq_u32_e32 0, v20
	s_cbranch_execz .LBB4_1393
; %bb.1395:                             ;   in Loop: Header=BB4_1394 Depth=2
	v_add_nc_u32_e32 v20, 1, v19
	s_mov_b32 s23, -1
	s_mov_b32 s22, exec_lo
	v_cmpx_lt_i32_e32 0x270e, v19
	s_cbranch_execz .LBB4_1392
; %bb.1396:                             ;   in Loop: Header=BB4_1394 Depth=2
	s_cbranch_execnz .LBB4_1533
; %bb.1397:                             ;   in Loop: Header=BB4_1394 Depth=2
	ds_load_b64 v[19:20], v0
	s_mov_b32 s24, exec_lo
	s_waitcnt vmcnt(0) lgkmcnt(0)
	s_waitcnt_vscnt null, 0x0
	flat_load_b32 v19, v[19:20] glc
	s_waitcnt vmcnt(0) lgkmcnt(0)
	buffer_gl1_inv
	buffer_gl0_inv
	v_cmpx_ne_u32_e32 0, v19
	s_cbranch_execz .LBB4_1391
; %bb.1398:                             ;   in Loop: Header=BB4_1394 Depth=2
	ds_store_b32 v0, v19
	s_cbranch_execnz .LBB4_1570
; %bb.1399:                             ;   in Loop: Header=BB4_1394 Depth=2
	v_or_b32_e32 v30, 64, v30
	s_xor_b32 s23, exec_lo, -1
	s_branch .LBB4_1391
.LBB4_1400:                             ;   in Loop: Header=BB4_1250 Depth=1
	s_or_b32 exec_lo, exec_lo, s19
	v_and_b32_e32 v19, 8, v30
.LBB4_1401:                             ;   in Loop: Header=BB4_1250 Depth=1
	s_or_b32 exec_lo, exec_lo, s18
	s_delay_alu instid0(VALU_DEP_1)
	v_cmp_eq_u32_e32 vcc_lo, 0, v19
	;;#ASMSTART
	s_wakeup
	;;#ASMEND
	s_or_not1_b32 s18, vcc_lo, exec_lo
.LBB4_1402:                             ;   in Loop: Header=BB4_1250 Depth=1
	s_or_b32 exec_lo, exec_lo, s10
	v_sub_nc_u32_e32 v10, v16, v10
	s_xor_b32 s18, s18, -1
	s_delay_alu instid0(VALU_DEP_1)
	v_min_i32_e32 v16, v21, v10
	s_and_saveexec_b32 s10, s18
	s_cbranch_execz .LBB4_1410
; %bb.1403:                             ;   in Loop: Header=BB4_1250 Depth=1
	v_and_b32_e32 v10, 0x100, v30
	s_mov_b32 s19, 0
	s_mov_b32 s18, exec_lo
                                        ; implicit-def: $vgpr20_vgpr21
	s_delay_alu instid0(VALU_DEP_1)
	v_cmpx_ne_u32_e32 0, v10
	s_xor_b32 s18, exec_lo, s18
                                        ; implicit-def: $vgpr18_vgpr19
	s_cbranch_execnz .LBB4_1418
; %bb.1404:                             ;   in Loop: Header=BB4_1250 Depth=1
	s_and_not1_saveexec_b32 s18, s18
	s_cbranch_execnz .LBB4_1421
.LBB4_1405:                             ;   in Loop: Header=BB4_1250 Depth=1
	s_or_b32 exec_lo, exec_lo, s18
	s_and_saveexec_b32 s18, s19
	s_cbranch_execz .LBB4_1407
.LBB4_1406:                             ;   in Loop: Header=BB4_1250 Depth=1
	v_mul_lo_u32 v10, v11, v81
	v_mul_lo_u32 v17, v18, v24
	s_waitcnt lgkmcnt(0)
	v_mad_u64_u32 v[20:21], null, v18, v81, 0
	s_delay_alu instid0(VALU_DEP_1)
	v_add3_u32 v21, v21, v17, v10
.LBB4_1407:                             ;   in Loop: Header=BB4_1250 Depth=1
	s_or_b32 exec_lo, exec_lo, s18
	s_waitcnt lgkmcnt(0)
	s_delay_alu instid0(VALU_DEP_1) | instskip(SKIP_2) | instid1(VALU_DEP_2)
	v_lshlrev_b64 v[17:18], 1, v[20:21]
	v_and_b32_e32 v10, 0x2000, v30
	s_mov_b32 s18, exec_lo
	v_add_co_u32 v17, vcc_lo, v32, v17
	s_delay_alu instid0(VALU_DEP_3)
	v_add_co_ci_u32_e32 v18, vcc_lo, v33, v18, vcc_lo
	ds_store_b64 v0, v[17:18] offset:784
	v_cmpx_ne_u32_e32 0, v10
	s_cbranch_execz .LBB4_1409
; %bb.1408:                             ;   in Loop: Header=BB4_1250 Depth=1
	ds_load_b64 v[17:18], v0 offset:584
	s_waitcnt lgkmcnt(0)
	v_add_co_u32 v17, vcc_lo, v17, 1
	v_add_co_ci_u32_e32 v18, vcc_lo, 0, v18, vcc_lo
	ds_store_b64 v0, v[17:18] offset:584
.LBB4_1409:                             ;   in Loop: Header=BB4_1250 Depth=1
	s_or_b32 exec_lo, exec_lo, s18
	v_add_co_u32 v8, vcc_lo, v8, 1
	v_add_co_ci_u32_e32 v9, vcc_lo, 0, v9, vcc_lo
.LBB4_1410:                             ;   in Loop: Header=BB4_1250 Depth=1
	s_or_b32 exec_lo, exec_lo, s10
	s_and_saveexec_b32 s10, s2
	s_cbranch_execz .LBB4_1436
; %bb.1411:                             ;   in Loop: Header=BB4_1250 Depth=1
	s_and_saveexec_b32 s18, s3
	s_delay_alu instid0(SALU_CYCLE_1)
	s_xor_b32 s18, exec_lo, s18
	s_cbranch_execz .LBB4_1433
; %bb.1412:                             ;   in Loop: Header=BB4_1250 Depth=1
	s_and_saveexec_b32 s19, s4
	s_cbranch_execz .LBB4_1432
; %bb.1413:                             ;   in Loop: Header=BB4_1250 Depth=1
	s_mov_b32 s21, exec_lo
	s_mov_b32 s20, exec_lo
	v_mbcnt_lo_u32_b32 v10, s21, 0
	s_waitcnt lgkmcnt(0)
	s_waitcnt_vscnt null, 0x0
	buffer_gl1_inv
	buffer_gl0_inv
	v_cmpx_eq_u32_e32 0, v10
	s_cbranch_execz .LBB4_1415
; %bb.1414:                             ;   in Loop: Header=BB4_1250 Depth=1
	s_bcnt1_i32_b32 s21, s21
	s_delay_alu instid0(SALU_CYCLE_1)
	v_mov_b32_e32 v10, s21
	ds_add_u64 v0, v[10:11]
	s_cbranch_execnz .LBB4_1590
.LBB4_1415:                             ;   in Loop: Header=BB4_1250 Depth=1
	s_or_b32 exec_lo, exec_lo, s20
	s_cbranch_execnz .LBB4_1574
; %bb.1416:                             ;   in Loop: Header=BB4_1250 Depth=1
	ds_load_b64 v[17:18], v0
	v_add_co_u32 v36, vcc_lo, v36, v25
	v_add_co_ci_u32_e32 v37, vcc_lo, 0, v37, vcc_lo
	s_mov_b32 s20, exec_lo
	s_waitcnt lgkmcnt(0)
	s_delay_alu instid0(VALU_DEP_1)
	v_cmpx_lt_u64_e64 v[17:18], v[36:37]
	s_cbranch_execz .LBB4_1431
; %bb.1417:                             ;   in Loop: Header=BB4_1250 Depth=1
	s_mov_b32 s21, 0
	s_mov_b32 s24, 0
                                        ; implicit-def: $sgpr22
                                        ; implicit-def: $sgpr23
	s_branch .LBB4_1423
.LBB4_1418:                             ;   in Loop: Header=BB4_1250 Depth=1
	s_waitcnt lgkmcnt(0)
	v_and_b32_e32 v18, 7, v8
	v_ashrrev_i32_e32 v17, 31, v16
	s_mov_b32 s19, -1
	s_mov_b32 s20, exec_lo
	s_delay_alu instid0(VALU_DEP_2) | instskip(NEXT) | instid1(VALU_DEP_2)
	v_mad_u64_u32 v[22:23], null, v18, 24, v[6:7]
	v_lshlrev_b64 v[19:20], 1, v[16:17]
	flat_load_b32 v10, v[22:23]
	flat_store_b64 v[22:23], v[19:20] offset:8
                                        ; implicit-def: $vgpr20_vgpr21
	s_waitcnt vmcnt(0) lgkmcnt(1)
	v_cmpx_eq_u32_e32 1, v10
	s_cbranch_execz .LBB4_1420
; %bb.1419:                             ;   in Loop: Header=BB4_1250 Depth=1
	flat_load_b32 v17, v[22:23] offset:4 glc
	s_xor_b32 s19, exec_lo, -1
	s_waitcnt vmcnt(0) lgkmcnt(0)
	v_ashrrev_i32_e32 v18, 31, v17
	s_delay_alu instid0(VALU_DEP_1)
	v_lshrrev_b64 v[20:21], 1, v[17:18]
                                        ; implicit-def: $vgpr18_vgpr19
.LBB4_1420:                             ;   in Loop: Header=BB4_1250 Depth=1
	s_or_b32 exec_lo, exec_lo, s20
	s_delay_alu instid0(SALU_CYCLE_1)
	s_and_b32 s19, s19, exec_lo
	s_and_not1_saveexec_b32 s18, s18
	s_cbranch_execz .LBB4_1405
.LBB4_1421:                             ;   in Loop: Header=BB4_1250 Depth=1
	s_waitcnt lgkmcnt(0)
	v_and_b32_e32 v18, 7, v8
	s_or_b32 s19, s19, exec_lo
                                        ; implicit-def: $vgpr20_vgpr21
	s_or_b32 exec_lo, exec_lo, s18
	s_and_saveexec_b32 s18, s19
	s_cbranch_execnz .LBB4_1406
	s_branch .LBB4_1407
.LBB4_1422:                             ;   in Loop: Header=BB4_1423 Depth=2
	s_or_b32 exec_lo, exec_lo, s27
	s_delay_alu instid0(SALU_CYCLE_1) | instskip(NEXT) | instid1(SALU_CYCLE_1)
	s_and_b32 s25, exec_lo, s26
	s_or_b32 s21, s25, s21
	s_and_not1_b32 s22, s22, exec_lo
	s_and_b32 s25, s23, exec_lo
	s_delay_alu instid0(SALU_CYCLE_1)
	s_or_b32 s22, s22, s25
	s_and_not1_b32 exec_lo, exec_lo, s21
	s_cbranch_execz .LBB4_1429
.LBB4_1423:                             ;   Parent Loop BB4_1250 Depth=1
                                        ; =>  This Inner Loop Header: Depth=2
	s_add_i32 s24, s24, 1
                                        ; implicit-def: $sgpr26
	s_delay_alu instid0(SALU_CYCLE_1) | instskip(SKIP_1) | instid1(SALU_CYCLE_1)
	s_cmpk_lg_i32 s24, 0x2710
	s_cselect_b32 s25, -1, 0
	s_and_b32 vcc_lo, exec_lo, s25
	s_cbranch_vccz .LBB4_1427
.LBB4_1424:                             ;   in Loop: Header=BB4_1423 Depth=2
	s_and_not1_b32 s23, s23, exec_lo
	s_and_b32 s27, s26, exec_lo
	s_mov_b32 s26, -1
	s_or_b32 s23, s23, s27
	s_and_saveexec_b32 s27, s25
	s_cbranch_execz .LBB4_1422
; %bb.1425:                             ;   in Loop: Header=BB4_1423 Depth=2
	s_sleep 1
	s_cbranch_execnz .LBB4_1626
; %bb.1426:                             ;   in Loop: Header=BB4_1423 Depth=2
	ds_load_b64 v[17:18], v0
	s_and_not1_b32 s23, s23, exec_lo
	s_waitcnt lgkmcnt(0)
	v_cmp_ge_u64_e32 vcc_lo, v[17:18], v[36:37]
	s_or_not1_b32 s26, vcc_lo, exec_lo
	s_branch .LBB4_1422
.LBB4_1427:                             ;   in Loop: Header=BB4_1423 Depth=2
	s_cbranch_execnz .LBB4_1630
; %bb.1428:                             ;   in Loop: Header=BB4_1423 Depth=2
	ds_load_b64 v[17:18], v0
	s_and_not1_b32 s25, s25, exec_lo
	s_mov_b32 s24, 0
	s_mov_b32 s26, -1
	s_waitcnt lgkmcnt(0)
	flat_load_b32 v10, v[17:18] glc
	s_waitcnt vmcnt(0) lgkmcnt(0)
	buffer_gl1_inv
	buffer_gl0_inv
	v_cmp_eq_u32_e32 vcc_lo, 0, v10
	s_and_b32 s27, vcc_lo, exec_lo
	s_delay_alu instid0(SALU_CYCLE_1)
	s_or_b32 s25, s25, s27
	s_branch .LBB4_1424
.LBB4_1429:                             ;   in Loop: Header=BB4_1250 Depth=1
	s_or_b32 exec_lo, exec_lo, s21
	s_and_saveexec_b32 s21, s22
	s_delay_alu instid0(SALU_CYCLE_1)
	s_xor_b32 s21, exec_lo, s21
	s_cbranch_execz .LBB4_1431
; %bb.1430:                             ;   in Loop: Header=BB4_1250 Depth=1
	ds_store_b32 v0, v50
	s_cbranch_execnz .LBB4_1720
.LBB4_1431:                             ;   in Loop: Header=BB4_1250 Depth=1
	s_or_b32 exec_lo, exec_lo, s20
	;;#ASMSTART
	s_wakeup
	;;#ASMEND
.LBB4_1432:                             ;   in Loop: Header=BB4_1250 Depth=1
	s_or_b32 exec_lo, exec_lo, s19
.LBB4_1433:                             ;   in Loop: Header=BB4_1250 Depth=1
	s_and_not1_saveexec_b32 s18, s18
	s_cbranch_execz .LBB4_1435
; %bb.1434:                             ;   in Loop: Header=BB4_1250 Depth=1
	s_waitcnt lgkmcnt(0)
	s_waitcnt_vscnt null, 0x0
	buffer_gl1_inv
	buffer_gl0_inv
	s_barrier
.LBB4_1435:                             ;   in Loop: Header=BB4_1250 Depth=1
	s_or_b32 exec_lo, exec_lo, s18
.LBB4_1436:                             ;   in Loop: Header=BB4_1250 Depth=1
	s_delay_alu instid0(SALU_CYCLE_1)
	s_or_b32 exec_lo, exec_lo, s10
	s_cbranch_execnz .LBB4_1519
; %bb.1437:                             ;   in Loop: Header=BB4_1250 Depth=1
	ds_load_b32 v10, v0
	v_cmp_lt_i32_e32 vcc_lo, 0, v16
	s_waitcnt lgkmcnt(0)
	v_readfirstlane_b32 s10, v10
	v_and_b32_e32 v10, 16, v30
	s_delay_alu instid0(VALU_DEP_2) | instskip(NEXT) | instid1(VALU_DEP_1)
	s_cmp_eq_u32 s10, 0
	v_cmp_ne_u32_e64 s10, 0, v10
	s_cselect_b32 s18, -1, 0
	s_delay_alu instid0(SALU_CYCLE_1)
	s_and_b32 s18, vcc_lo, s18
	s_delay_alu instid0(VALU_DEP_1) | instid1(SALU_CYCLE_1)
	s_and_b32 s18, s10, s18
	s_delay_alu instid0(SALU_CYCLE_1)
	s_and_saveexec_b32 s10, s18
	s_cbranch_execz .LBB4_1439
; %bb.1438:                             ;   in Loop: Header=BB4_1250 Depth=1
	s_waitcnt_vscnt null, 0x0
	buffer_gl1_inv
	buffer_gl0_inv
.LBB4_1439:                             ;   in Loop: Header=BB4_1250 Depth=1
	s_or_b32 exec_lo, exec_lo, s10
	s_delay_alu instid0(SALU_CYCLE_1)
	s_mov_b32 s10, exec_lo
	v_cmpx_ne_u32_e32 0, v10
	s_cbranch_execz .LBB4_1443
; %bb.1440:                             ;   in Loop: Header=BB4_1250 Depth=1
	s_and_saveexec_b32 s18, s7
	s_cbranch_execz .LBB4_1442
; %bb.1441:                             ;   in Loop: Header=BB4_1250 Depth=1
	s_waitcnt_vscnt null, 0x0
	flat_store_b32 v[48:49], v50
.LBB4_1442:                             ;   in Loop: Header=BB4_1250 Depth=1
	s_or_b32 exec_lo, exec_lo, s18
	v_add_co_u32 v8, vcc_lo, v8, 1
	v_add_co_ci_u32_e32 v9, vcc_lo, 0, v9, vcc_lo
	s_waitcnt lgkmcnt(0)
	s_waitcnt_vscnt null, 0x0
	flat_store_b64 v[28:29], v[8:9]
.LBB4_1443:                             ;   in Loop: Header=BB4_1250 Depth=1
	s_or_b32 exec_lo, exec_lo, s10
.LBB4_1444:                             ;   in Loop: Header=BB4_1250 Depth=1
	s_delay_alu instid0(SALU_CYCLE_1) | instskip(SKIP_2) | instid1(VALU_DEP_1)
	s_or_b32 exec_lo, exec_lo, s11
	v_add_co_u32 v12, vcc_lo, v12, v38
	v_add_co_ci_u32_e32 v13, vcc_lo, 0, v13, vcc_lo
	v_cmp_ge_u64_e32 vcc_lo, v[12:13], v[4:5]
	s_or_b32 s14, vcc_lo, s14
	s_delay_alu instid0(SALU_CYCLE_1)
	s_and_not1_b32 exec_lo, exec_lo, s14
	s_cbranch_execnz .LBB4_1250
; %bb.1445:
	s_or_b32 exec_lo, exec_lo, s14
.LBB4_1446:
	s_delay_alu instid0(SALU_CYCLE_1)
	s_or_b32 exec_lo, exec_lo, s13
.LBB4_1447:
	s_delay_alu instid0(SALU_CYCLE_1) | instskip(SKIP_2) | instid1(VALU_DEP_1)
	s_or_b32 exec_lo, exec_lo, s12
	v_and_b32_e32 v0, 0x800, v30
	s_mov_b32 s0, exec_lo
	v_cmpx_eq_u32_e32 0, v0
	s_cbranch_execz .LBB4_1662
; %bb.1448:
	v_and_b32_e32 v0, 48, v30
	s_mov_b32 s1, exec_lo
	s_delay_alu instid0(VALU_DEP_1)
	v_cmpx_ne_u32_e32 0, v0
	s_cbranch_execz .LBB4_1450
; %bb.1449:
	s_waitcnt lgkmcnt(0)
	flat_store_b64 v[26:27], v[8:9] offset:104
.LBB4_1450:
	s_or_b32 exec_lo, exec_lo, s1
	v_and_b32_e32 v0, 0x88, v30
	s_mov_b32 s1, exec_lo
	s_delay_alu instid0(VALU_DEP_1)
	v_cmpx_eq_u32_e32 0x88, v0
	s_cbranch_execz .LBB4_1500
; %bb.1451:
	s_waitcnt lgkmcnt(0)
	v_add_nc_u32_e32 v0, -1, v8
	s_mov_b32 s2, 0
                                        ; implicit-def: $sgpr3
	s_delay_alu instid0(VALU_DEP_1) | instskip(NEXT) | instid1(VALU_DEP_1)
	v_and_b32_e32 v0, 7, v0
	v_mad_u64_u32 v[4:5], null, v0, 24, v[6:7]
	v_mov_b32_e32 v0, 0
	s_delay_alu instid0(VALU_DEP_2) | instskip(NEXT) | instid1(VALU_DEP_3)
	v_add_co_u32 v4, vcc_lo, v4, 8
	v_add_co_ci_u32_e32 v5, vcc_lo, 0, v5, vcc_lo
	s_branch .LBB4_1484
.LBB4_1452:
	s_trap 2
	s_sendmsg_rtn_b32 s0, sendmsg(MSG_RTN_GET_DOORBELL)
	s_mov_b32 ttmp2, m0
	s_waitcnt lgkmcnt(0)
	s_and_b32 s0, s0, 0x3ff
	s_delay_alu instid0(SALU_CYCLE_1) | instskip(NEXT) | instid1(SALU_CYCLE_1)
	s_bitset1_b32 s0, 10
	s_mov_b32 m0, s0
	s_sendmsg sendmsg(MSG_INTERRUPT)
	s_mov_b32 m0, ttmp2
.LBB4_1453:                             ; =>This Inner Loop Header: Depth=1
	s_sethalt 5
	s_branch .LBB4_1453
.LBB4_1454:
	v_bfe_u32 v10, v6, 8, 8
	v_not_b32_e32 v8, v8
	s_mov_b32 s1, exec_lo
                                        ; implicit-def: $vgpr17_vgpr18
                                        ; implicit-def: $vgpr4_vgpr5
                                        ; implicit-def: $vgpr50_vgpr51
	s_delay_alu instid0(VALU_DEP_2)
	v_cmpx_ne_u32_e64 v10, v9
	s_xor_b32 s1, exec_lo, s1
	s_cbranch_execz .LBB4_1456
; %bb.1455:
	s_clause 0x1
	flat_load_b128 v[4:7], v[2:3] offset:72
	flat_load_b64 v[10:11], v[2:3] offset:96
	v_add_nc_u32_e32 v8, v9, v8
	s_delay_alu instid0(VALU_DEP_1) | instskip(SKIP_1) | instid1(VALU_DEP_1)
	v_ashrrev_i32_e32 v9, 31, v8
	s_waitcnt vmcnt(1) lgkmcnt(1)
	v_mul_lo_u32 v9, v6, v9
	v_mad_u64_u32 v[50:51], null, v6, v8, v[4:5]
	v_mul_lo_u32 v4, v7, v8
	s_waitcnt vmcnt(0) lgkmcnt(0)
	v_lshrrev_b64 v[17:18], 13, v[10:11]
                                        ; implicit-def: $vgpr10
                                        ; implicit-def: $vgpr8
	s_delay_alu instid0(VALU_DEP_2)
	v_add3_u32 v51, v4, v51, v9
	v_dual_mov_b32 v4, v6 :: v_dual_mov_b32 v5, v7
.LBB4_1456:
	s_and_not1_saveexec_b32 s1, s1
	s_cbranch_execz .LBB4_1458
; %bb.1457:
	s_clause 0x1
	flat_load_b128 v[17:20], v[2:3] offset:72
	flat_load_b128 v[4:7], v[2:3] offset:88
	s_waitcnt vmcnt(0) lgkmcnt(0)
	v_add_nc_u32_e32 v6, v10, v8
	s_delay_alu instid0(VALU_DEP_1) | instskip(NEXT) | instid1(VALU_DEP_1)
	v_ashrrev_i32_e32 v8, 31, v6
	v_mul_lo_u32 v8, v19, v8
	v_mad_u64_u32 v[50:51], null, v19, v6, v[17:18]
	v_mul_lo_u32 v6, v20, v6
	v_lshrrev_b32_e32 v17, 2, v7
	s_delay_alu instid0(VALU_DEP_2)
	v_add3_u32 v51, v6, v51, v8
.LBB4_1458:
	s_or_b32 exec_lo, exec_lo, s1
	s_and_not1_saveexec_b32 s0, s0
	s_cbranch_execz .LBB4_3
.LBB4_1459:
	s_clause 0x1
	flat_load_b64 v[6:7], v[2:3] offset:96
	flat_load_b64 v[4:5], v[2:3] offset:72
	v_mov_b32_e32 v50, 0
	v_mov_b32_e32 v51, 0
	s_waitcnt vmcnt(1) lgkmcnt(1)
	v_lshlrev_b64 v[17:18], 8, v[6:7]
	s_or_b32 exec_lo, exec_lo, s0
	s_cbranch_execz .LBB4_4
.LBB4_1460:
	s_trap 2
	s_sendmsg_rtn_b32 s0, sendmsg(MSG_RTN_GET_DOORBELL)
	s_mov_b32 ttmp2, m0
	s_waitcnt lgkmcnt(0)
	s_and_b32 s0, s0, 0x3ff
	s_delay_alu instid0(SALU_CYCLE_1) | instskip(NEXT) | instid1(SALU_CYCLE_1)
	s_bitset1_b32 s0, 10
	s_mov_b32 m0, s0
	s_sendmsg sendmsg(MSG_INTERRUPT)
	s_mov_b32 m0, ttmp2
.LBB4_1461:                             ; =>This Inner Loop Header: Depth=1
	s_sethalt 5
	s_branch .LBB4_1461
.LBB4_1462:
	s_trap 2
	s_sendmsg_rtn_b32 s0, sendmsg(MSG_RTN_GET_DOORBELL)
	s_mov_b32 ttmp2, m0
	s_waitcnt lgkmcnt(0)
	s_and_b32 s0, s0, 0x3ff
	s_delay_alu instid0(SALU_CYCLE_1) | instskip(NEXT) | instid1(SALU_CYCLE_1)
	s_bitset1_b32 s0, 10
	s_mov_b32 m0, s0
	s_sendmsg sendmsg(MSG_INTERRUPT)
	s_mov_b32 m0, ttmp2
.LBB4_1463:                             ; =>This Inner Loop Header: Depth=1
	s_sethalt 5
	s_branch .LBB4_1463
.LBB4_1464:
	s_trap 2
	s_sendmsg_rtn_b32 s0, sendmsg(MSG_RTN_GET_DOORBELL)
	s_mov_b32 ttmp2, m0
	s_waitcnt lgkmcnt(0)
	s_and_b32 s0, s0, 0x3ff
	s_delay_alu instid0(SALU_CYCLE_1) | instskip(NEXT) | instid1(SALU_CYCLE_1)
	s_bitset1_b32 s0, 10
	s_mov_b32 m0, s0
	s_sendmsg sendmsg(MSG_INTERRUPT)
	s_mov_b32 m0, ttmp2
.LBB4_1465:                             ; =>This Inner Loop Header: Depth=1
	s_sethalt 5
	s_branch .LBB4_1465
.LBB4_1466:
	s_trap 2
	s_sendmsg_rtn_b32 s0, sendmsg(MSG_RTN_GET_DOORBELL)
	s_mov_b32 ttmp2, m0
	s_waitcnt lgkmcnt(0)
	s_and_b32 s0, s0, 0x3ff
	s_delay_alu instid0(SALU_CYCLE_1) | instskip(NEXT) | instid1(SALU_CYCLE_1)
	s_bitset1_b32 s0, 10
	s_mov_b32 m0, s0
	s_sendmsg sendmsg(MSG_INTERRUPT)
	s_mov_b32 m0, ttmp2
.LBB4_1467:                             ; =>This Inner Loop Header: Depth=1
	s_sethalt 5
	s_branch .LBB4_1467
.LBB4_1468:
	s_trap 2
	s_sendmsg_rtn_b32 s0, sendmsg(MSG_RTN_GET_DOORBELL)
	s_mov_b32 ttmp2, m0
	s_waitcnt lgkmcnt(0)
	s_and_b32 s0, s0, 0x3ff
	s_delay_alu instid0(SALU_CYCLE_1) | instskip(NEXT) | instid1(SALU_CYCLE_1)
	s_bitset1_b32 s0, 10
	s_mov_b32 m0, s0
	s_sendmsg sendmsg(MSG_INTERRUPT)
	s_mov_b32 m0, ttmp2
.LBB4_1469:                             ; =>This Inner Loop Header: Depth=1
	s_sethalt 5
	s_branch .LBB4_1469
.LBB4_1470:
	s_trap 2
	s_sendmsg_rtn_b32 s0, sendmsg(MSG_RTN_GET_DOORBELL)
	s_mov_b32 ttmp2, m0
	s_waitcnt lgkmcnt(0)
	s_and_b32 s0, s0, 0x3ff
	s_delay_alu instid0(SALU_CYCLE_1) | instskip(NEXT) | instid1(SALU_CYCLE_1)
	s_bitset1_b32 s0, 10
	s_mov_b32 m0, s0
	s_sendmsg sendmsg(MSG_INTERRUPT)
	s_mov_b32 m0, ttmp2
.LBB4_1471:                             ; =>This Inner Loop Header: Depth=1
	s_sethalt 5
	s_branch .LBB4_1471
.LBB4_1472:
	s_trap 2
	s_sendmsg_rtn_b32 s0, sendmsg(MSG_RTN_GET_DOORBELL)
	s_mov_b32 ttmp2, m0
	s_waitcnt lgkmcnt(0)
	s_and_b32 s0, s0, 0x3ff
	s_delay_alu instid0(SALU_CYCLE_1) | instskip(NEXT) | instid1(SALU_CYCLE_1)
	s_bitset1_b32 s0, 10
	s_mov_b32 m0, s0
	s_sendmsg sendmsg(MSG_INTERRUPT)
	s_mov_b32 m0, ttmp2
.LBB4_1473:                             ; =>This Inner Loop Header: Depth=1
	s_sethalt 5
	s_branch .LBB4_1473
.LBB4_1474:
	s_trap 2
	s_sendmsg_rtn_b32 s0, sendmsg(MSG_RTN_GET_DOORBELL)
	s_mov_b32 ttmp2, m0
	s_waitcnt lgkmcnt(0)
	s_and_b32 s0, s0, 0x3ff
	s_delay_alu instid0(SALU_CYCLE_1) | instskip(NEXT) | instid1(SALU_CYCLE_1)
	s_bitset1_b32 s0, 10
	s_mov_b32 m0, s0
	s_sendmsg sendmsg(MSG_INTERRUPT)
	s_mov_b32 m0, ttmp2
.LBB4_1475:                             ; =>This Inner Loop Header: Depth=1
	s_sethalt 5
	s_branch .LBB4_1475
.LBB4_1476:
	s_trap 2
	s_sendmsg_rtn_b32 s0, sendmsg(MSG_RTN_GET_DOORBELL)
	s_mov_b32 ttmp2, m0
	s_waitcnt lgkmcnt(0)
	s_and_b32 s0, s0, 0x3ff
	s_delay_alu instid0(SALU_CYCLE_1) | instskip(NEXT) | instid1(SALU_CYCLE_1)
	s_bitset1_b32 s0, 10
	s_mov_b32 m0, s0
	s_sendmsg sendmsg(MSG_INTERRUPT)
	s_mov_b32 m0, ttmp2
.LBB4_1477:                             ; =>This Inner Loop Header: Depth=1
	s_sethalt 5
	s_branch .LBB4_1477
.LBB4_1478:
	s_trap 2
	s_sendmsg_rtn_b32 s0, sendmsg(MSG_RTN_GET_DOORBELL)
	s_mov_b32 ttmp2, m0
	s_waitcnt lgkmcnt(0)
	s_and_b32 s0, s0, 0x3ff
	s_delay_alu instid0(SALU_CYCLE_1) | instskip(NEXT) | instid1(SALU_CYCLE_1)
	s_bitset1_b32 s0, 10
	s_mov_b32 m0, s0
	s_sendmsg sendmsg(MSG_INTERRUPT)
	s_mov_b32 m0, ttmp2
.LBB4_1479:                             ; =>This Inner Loop Header: Depth=1
	s_sethalt 5
	s_branch .LBB4_1479
.LBB4_1480:                             ;   in Loop: Header=BB4_1484 Depth=1
	s_or_b32 exec_lo, exec_lo, s10
	v_mov_b32_e32 v6, 0
	s_or_not1_b32 s7, s7, exec_lo
.LBB4_1481:                             ;   in Loop: Header=BB4_1484 Depth=1
	s_or_b32 exec_lo, exec_lo, s6
	s_delay_alu instid0(VALU_DEP_1)
	v_mov_b32_e32 v0, v6
	s_and_b32 s6, s7, exec_lo
.LBB4_1482:                             ;   in Loop: Header=BB4_1484 Depth=1
	s_or_b32 exec_lo, exec_lo, s5
	s_xor_b32 s5, s6, -1
	s_and_not1_b32 s3, s3, exec_lo
	s_and_b32 s5, s5, exec_lo
	s_delay_alu instid0(SALU_CYCLE_1)
	s_or_b32 s3, s3, s5
.LBB4_1483:                             ;   in Loop: Header=BB4_1484 Depth=1
	s_or_b32 exec_lo, exec_lo, s4
	s_delay_alu instid0(SALU_CYCLE_1) | instskip(NEXT) | instid1(SALU_CYCLE_1)
	s_and_b32 s4, exec_lo, s3
	s_or_b32 s2, s4, s2
	s_delay_alu instid0(SALU_CYCLE_1)
	s_and_not1_b32 exec_lo, exec_lo, s2
	s_cbranch_execz .LBB4_1499
.LBB4_1484:                             ; =>This Inner Loop Header: Depth=1
	flat_load_b64 v[6:7], v[4:5] glc dlc
	s_waitcnt vmcnt(0)
	s_or_b32 s3, s3, exec_lo
	s_mov_b32 s4, exec_lo
	s_waitcnt lgkmcnt(0)
	v_cmpx_ne_u64_e32 -1, v[6:7]
	s_cbranch_execz .LBB4_1483
; %bb.1485:                             ;   in Loop: Header=BB4_1484 Depth=1
	v_and_b32_e32 v6, 64, v30
	s_mov_b32 s6, 0
	s_mov_b32 s5, exec_lo
	s_delay_alu instid0(VALU_DEP_1)
	v_cmpx_eq_u32_e32 0, v6
	s_cbranch_execz .LBB4_1482
; %bb.1486:                             ;   in Loop: Header=BB4_1484 Depth=1
	v_add_nc_u32_e32 v6, 1, v0
	s_mov_b32 s7, -1
	s_mov_b32 s6, exec_lo
	v_cmpx_lt_i32_e32 0x270e, v0
	s_cbranch_execz .LBB4_1481
; %bb.1487:                             ;   in Loop: Header=BB4_1484 Depth=1
	s_cbranch_execnz .LBB4_1491
; %bb.1488:                             ;   in Loop: Header=BB4_1484 Depth=1
	ds_load_b64 v[6:7], v0
	s_mov_b32 s10, exec_lo
	s_waitcnt lgkmcnt(0)
	s_waitcnt_vscnt null, 0x0
	flat_load_b32 v0, v[6:7] glc
	s_waitcnt vmcnt(0) lgkmcnt(0)
	buffer_gl1_inv
	buffer_gl0_inv
	v_cmpx_ne_u32_e32 0, v0
	s_cbranch_execz .LBB4_1480
; %bb.1489:                             ;   in Loop: Header=BB4_1484 Depth=1
	ds_store_b32 v0, v0
	s_cbranch_execnz .LBB4_1513
; %bb.1490:                             ;   in Loop: Header=BB4_1484 Depth=1
	v_or_b32_e32 v30, 64, v30
	s_xor_b32 s7, exec_lo, -1
	s_branch .LBB4_1480
.LBB4_1491:
	s_trap 2
	s_sendmsg_rtn_b32 s0, sendmsg(MSG_RTN_GET_DOORBELL)
	s_mov_b32 ttmp2, m0
	s_waitcnt lgkmcnt(0)
	s_and_b32 s0, s0, 0x3ff
	s_delay_alu instid0(SALU_CYCLE_1) | instskip(NEXT) | instid1(SALU_CYCLE_1)
	s_bitset1_b32 s0, 10
	s_mov_b32 m0, s0
	s_sendmsg sendmsg(MSG_INTERRUPT)
	s_mov_b32 m0, ttmp2
.LBB4_1492:                             ; =>This Inner Loop Header: Depth=1
	s_sethalt 5
	s_branch .LBB4_1492
.LBB4_1493:
	s_trap 2
	s_sendmsg_rtn_b32 s0, sendmsg(MSG_RTN_GET_DOORBELL)
	s_mov_b32 ttmp2, m0
	s_waitcnt lgkmcnt(0)
	s_and_b32 s0, s0, 0x3ff
	s_delay_alu instid0(SALU_CYCLE_1) | instskip(NEXT) | instid1(SALU_CYCLE_1)
	s_bitset1_b32 s0, 10
	s_mov_b32 m0, s0
	s_sendmsg sendmsg(MSG_INTERRUPT)
	s_mov_b32 m0, ttmp2
.LBB4_1494:                             ; =>This Inner Loop Header: Depth=1
	s_sethalt 5
	s_branch .LBB4_1494
.LBB4_1495:
	s_trap 2
	s_sendmsg_rtn_b32 s0, sendmsg(MSG_RTN_GET_DOORBELL)
	s_mov_b32 ttmp2, m0
	s_waitcnt lgkmcnt(0)
	s_and_b32 s0, s0, 0x3ff
	s_delay_alu instid0(SALU_CYCLE_1) | instskip(NEXT) | instid1(SALU_CYCLE_1)
	s_bitset1_b32 s0, 10
	s_mov_b32 m0, s0
	s_sendmsg sendmsg(MSG_INTERRUPT)
	s_mov_b32 m0, ttmp2
.LBB4_1496:                             ; =>This Inner Loop Header: Depth=1
	s_sethalt 5
	s_branch .LBB4_1496
.LBB4_1497:
	s_trap 2
	s_sendmsg_rtn_b32 s0, sendmsg(MSG_RTN_GET_DOORBELL)
	s_mov_b32 ttmp2, m0
	s_waitcnt lgkmcnt(0)
	s_and_b32 s0, s0, 0x3ff
	s_delay_alu instid0(SALU_CYCLE_1) | instskip(NEXT) | instid1(SALU_CYCLE_1)
	s_bitset1_b32 s0, 10
	s_mov_b32 m0, s0
	s_sendmsg sendmsg(MSG_INTERRUPT)
	s_mov_b32 m0, ttmp2
.LBB4_1498:                             ; =>This Inner Loop Header: Depth=1
	s_sethalt 5
	s_branch .LBB4_1498
.LBB4_1499:
	s_or_b32 exec_lo, exec_lo, s2
.LBB4_1500:
	s_delay_alu instid0(SALU_CYCLE_1) | instskip(SKIP_2) | instid1(VALU_DEP_1)
	s_or_b32 exec_lo, exec_lo, s1
	v_and_b32_e32 v0, 0x2000, v30
	s_mov_b32 s1, exec_lo
	v_cmpx_ne_u32_e32 0, v0
	s_cbranch_execz .LBB4_1503
; %bb.1501:
	s_cbranch_execnz .LBB4_1511
; %bb.1502:
	ds_load_b64 v[4:5], v0
	s_waitcnt lgkmcnt(0)
	flat_store_b64 v[2:3], v[4:5] offset:16
.LBB4_1503:
	s_or_b32 exec_lo, exec_lo, s1
	v_cmp_ne_u32_e32 vcc_lo, 32, v1
	s_and_b32 exec_lo, exec_lo, vcc_lo
	s_cbranch_execz .LBB4_1662
; %bb.1504:
	s_mov_b32 s1, exec_lo
	v_cmpx_ne_u32_e64 v80, v1
	s_xor_b32 s1, exec_lo, s1
	s_cbranch_execz .LBB4_1660
; %bb.1505:
	v_and_b32_e32 v0, 31, v31
	s_mov_b32 s2, exec_lo
	s_delay_alu instid0(VALU_DEP_1)
	v_cmpx_eq_u32_e32 0, v0
	s_cbranch_execz .LBB4_1659
; %bb.1506:
	s_mov_b32 s4, exec_lo
	s_mov_b32 s3, exec_lo
	v_mbcnt_lo_u32_b32 v0, s4, 0
	s_waitcnt lgkmcnt(0)
	s_waitcnt_vscnt null, 0x0
	buffer_gl1_inv
	buffer_gl0_inv
	v_cmpx_eq_u32_e32 0, v0
	s_cbranch_execz .LBB4_1508
; %bb.1507:
	s_bcnt1_i32_b32 s4, s4
	s_delay_alu instid0(SALU_CYCLE_1)
	v_dual_mov_b32 v3, 0 :: v_dual_mov_b32 v2, s4
	ds_add_u64 v0, v[2:3]
	s_cbranch_execnz .LBB4_1556
.LBB4_1508:
	s_or_b32 exec_lo, exec_lo, s3
	s_cbranch_execnz .LBB4_1539
; %bb.1509:
	v_ashrrev_i32_e32 v0, 31, v1
	s_mov_b32 s3, exec_lo
	s_delay_alu instid0(VALU_DEP_1) | instskip(NEXT) | instid1(VALU_DEP_1)
	v_lshrrev_b32_e32 v0, 27, v0
	v_add_nc_u32_e32 v0, v1, v0
	ds_load_b64 v[2:3], v0
	v_ashrrev_i32_e32 v0, 5, v0
	s_delay_alu instid0(VALU_DEP_1) | instskip(SKIP_1) | instid1(VALU_DEP_2)
	v_ashrrev_i32_e32 v1, 31, v0
	v_add_co_u32 v0, vcc_lo, v36, v0
	v_add_co_ci_u32_e32 v1, vcc_lo, v37, v1, vcc_lo
	s_waitcnt lgkmcnt(0)
	s_delay_alu instid0(VALU_DEP_1)
	v_cmpx_lt_u64_e64 v[2:3], v[0:1]
	s_cbranch_execz .LBB4_1658
; %bb.1510:
	s_mov_b32 s4, 0
	s_mov_b32 s7, 0
                                        ; implicit-def: $sgpr5
                                        ; implicit-def: $sgpr6
	s_branch .LBB4_1546
.LBB4_1511:
	s_trap 2
	s_sendmsg_rtn_b32 s0, sendmsg(MSG_RTN_GET_DOORBELL)
	s_mov_b32 ttmp2, m0
	s_waitcnt lgkmcnt(0)
	s_and_b32 s0, s0, 0x3ff
	s_delay_alu instid0(SALU_CYCLE_1) | instskip(NEXT) | instid1(SALU_CYCLE_1)
	s_bitset1_b32 s0, 10
	s_mov_b32 m0, s0
	s_sendmsg sendmsg(MSG_INTERRUPT)
	s_mov_b32 m0, ttmp2
.LBB4_1512:                             ; =>This Inner Loop Header: Depth=1
	s_sethalt 5
	s_branch .LBB4_1512
.LBB4_1513:
	s_trap 2
	s_sendmsg_rtn_b32 s0, sendmsg(MSG_RTN_GET_DOORBELL)
	s_mov_b32 ttmp2, m0
	s_waitcnt lgkmcnt(0)
	s_and_b32 s0, s0, 0x3ff
	s_delay_alu instid0(SALU_CYCLE_1) | instskip(NEXT) | instid1(SALU_CYCLE_1)
	s_bitset1_b32 s0, 10
	s_mov_b32 m0, s0
	s_sendmsg sendmsg(MSG_INTERRUPT)
	s_mov_b32 m0, ttmp2
.LBB4_1514:                             ; =>This Inner Loop Header: Depth=1
	s_sethalt 5
	s_branch .LBB4_1514
.LBB4_1515:
	s_trap 2
	s_sendmsg_rtn_b32 s0, sendmsg(MSG_RTN_GET_DOORBELL)
	s_mov_b32 ttmp2, m0
	s_waitcnt lgkmcnt(0)
	s_and_b32 s0, s0, 0x3ff
	s_delay_alu instid0(SALU_CYCLE_1) | instskip(NEXT) | instid1(SALU_CYCLE_1)
	s_bitset1_b32 s0, 10
	s_mov_b32 m0, s0
	s_sendmsg sendmsg(MSG_INTERRUPT)
	s_mov_b32 m0, ttmp2
.LBB4_1516:                             ; =>This Inner Loop Header: Depth=1
	s_sethalt 5
	s_branch .LBB4_1516
.LBB4_1517:
	s_trap 2
	s_sendmsg_rtn_b32 s0, sendmsg(MSG_RTN_GET_DOORBELL)
	s_mov_b32 ttmp2, m0
	s_waitcnt lgkmcnt(0)
	s_and_b32 s0, s0, 0x3ff
	s_delay_alu instid0(SALU_CYCLE_1) | instskip(NEXT) | instid1(SALU_CYCLE_1)
	s_bitset1_b32 s0, 10
	s_mov_b32 m0, s0
	s_sendmsg sendmsg(MSG_INTERRUPT)
	s_mov_b32 m0, ttmp2
.LBB4_1518:                             ; =>This Inner Loop Header: Depth=1
	s_sethalt 5
	s_branch .LBB4_1518
.LBB4_1519:
	s_trap 2
	s_sendmsg_rtn_b32 s0, sendmsg(MSG_RTN_GET_DOORBELL)
	s_mov_b32 ttmp2, m0
	s_waitcnt lgkmcnt(0)
	s_and_b32 s0, s0, 0x3ff
	s_delay_alu instid0(SALU_CYCLE_1) | instskip(NEXT) | instid1(SALU_CYCLE_1)
	s_bitset1_b32 s0, 10
	s_mov_b32 m0, s0
	s_sendmsg sendmsg(MSG_INTERRUPT)
	s_mov_b32 m0, ttmp2
.LBB4_1520:                             ; =>This Inner Loop Header: Depth=1
	s_sethalt 5
	s_branch .LBB4_1520
.LBB4_1521:
	s_trap 2
	s_sendmsg_rtn_b32 s0, sendmsg(MSG_RTN_GET_DOORBELL)
	s_mov_b32 ttmp2, m0
	s_waitcnt lgkmcnt(0)
	s_and_b32 s0, s0, 0x3ff
	s_delay_alu instid0(SALU_CYCLE_1) | instskip(NEXT) | instid1(SALU_CYCLE_1)
	s_bitset1_b32 s0, 10
	s_mov_b32 m0, s0
	s_sendmsg sendmsg(MSG_INTERRUPT)
	s_mov_b32 m0, ttmp2
.LBB4_1522:                             ; =>This Inner Loop Header: Depth=1
	s_sethalt 5
	s_branch .LBB4_1522
.LBB4_1523:
	s_trap 2
	s_sendmsg_rtn_b32 s0, sendmsg(MSG_RTN_GET_DOORBELL)
	s_mov_b32 ttmp2, m0
	s_waitcnt lgkmcnt(0)
	s_and_b32 s0, s0, 0x3ff
	s_delay_alu instid0(SALU_CYCLE_1) | instskip(NEXT) | instid1(SALU_CYCLE_1)
	s_bitset1_b32 s0, 10
	s_mov_b32 m0, s0
	s_sendmsg sendmsg(MSG_INTERRUPT)
	s_mov_b32 m0, ttmp2
.LBB4_1524:                             ; =>This Inner Loop Header: Depth=1
	s_sethalt 5
	s_branch .LBB4_1524
.LBB4_1525:
	s_trap 2
	s_sendmsg_rtn_b32 s0, sendmsg(MSG_RTN_GET_DOORBELL)
	s_mov_b32 ttmp2, m0
	s_waitcnt lgkmcnt(0)
	s_and_b32 s0, s0, 0x3ff
	s_delay_alu instid0(SALU_CYCLE_1) | instskip(NEXT) | instid1(SALU_CYCLE_1)
	s_bitset1_b32 s0, 10
	s_mov_b32 m0, s0
	s_sendmsg sendmsg(MSG_INTERRUPT)
	s_mov_b32 m0, ttmp2
.LBB4_1526:                             ; =>This Inner Loop Header: Depth=1
	s_sethalt 5
	s_branch .LBB4_1526
.LBB4_1527:
	s_trap 2
	s_sendmsg_rtn_b32 s0, sendmsg(MSG_RTN_GET_DOORBELL)
	s_mov_b32 ttmp2, m0
	s_waitcnt lgkmcnt(0)
	s_and_b32 s0, s0, 0x3ff
	s_delay_alu instid0(SALU_CYCLE_1) | instskip(NEXT) | instid1(SALU_CYCLE_1)
	s_bitset1_b32 s0, 10
	s_mov_b32 m0, s0
	s_sendmsg sendmsg(MSG_INTERRUPT)
	s_mov_b32 m0, ttmp2
.LBB4_1528:                             ; =>This Inner Loop Header: Depth=1
	s_sethalt 5
	s_branch .LBB4_1528
.LBB4_1529:
	s_trap 2
	s_sendmsg_rtn_b32 s0, sendmsg(MSG_RTN_GET_DOORBELL)
	s_mov_b32 ttmp2, m0
	s_waitcnt lgkmcnt(0)
	s_and_b32 s0, s0, 0x3ff
	s_delay_alu instid0(SALU_CYCLE_1) | instskip(NEXT) | instid1(SALU_CYCLE_1)
	s_bitset1_b32 s0, 10
	s_mov_b32 m0, s0
	s_sendmsg sendmsg(MSG_INTERRUPT)
	s_mov_b32 m0, ttmp2
.LBB4_1530:                             ; =>This Inner Loop Header: Depth=1
	s_sethalt 5
	s_branch .LBB4_1530
.LBB4_1531:
	s_trap 2
	s_sendmsg_rtn_b32 s0, sendmsg(MSG_RTN_GET_DOORBELL)
	s_mov_b32 ttmp2, m0
	s_waitcnt lgkmcnt(0)
	s_and_b32 s0, s0, 0x3ff
	s_delay_alu instid0(SALU_CYCLE_1) | instskip(NEXT) | instid1(SALU_CYCLE_1)
	s_bitset1_b32 s0, 10
	s_mov_b32 m0, s0
	s_sendmsg sendmsg(MSG_INTERRUPT)
	s_mov_b32 m0, ttmp2
.LBB4_1532:                             ; =>This Inner Loop Header: Depth=1
	s_sethalt 5
	s_branch .LBB4_1532
.LBB4_1533:
	s_trap 2
	s_sendmsg_rtn_b32 s0, sendmsg(MSG_RTN_GET_DOORBELL)
	s_mov_b32 ttmp2, m0
	s_waitcnt lgkmcnt(0)
	s_and_b32 s0, s0, 0x3ff
	s_delay_alu instid0(SALU_CYCLE_1) | instskip(NEXT) | instid1(SALU_CYCLE_1)
	s_bitset1_b32 s0, 10
	s_mov_b32 m0, s0
	s_sendmsg sendmsg(MSG_INTERRUPT)
	s_mov_b32 m0, ttmp2
.LBB4_1534:                             ; =>This Inner Loop Header: Depth=1
	s_sethalt 5
	s_branch .LBB4_1534
.LBB4_1535:
	s_trap 2
	s_sendmsg_rtn_b32 s0, sendmsg(MSG_RTN_GET_DOORBELL)
	s_mov_b32 ttmp2, m0
	s_waitcnt lgkmcnt(0)
	s_and_b32 s0, s0, 0x3ff
	s_delay_alu instid0(SALU_CYCLE_1) | instskip(NEXT) | instid1(SALU_CYCLE_1)
	s_bitset1_b32 s0, 10
	s_mov_b32 m0, s0
	s_sendmsg sendmsg(MSG_INTERRUPT)
	s_mov_b32 m0, ttmp2
.LBB4_1536:                             ; =>This Inner Loop Header: Depth=1
	s_sethalt 5
	s_branch .LBB4_1536
.LBB4_1537:
	s_trap 2
	s_sendmsg_rtn_b32 s0, sendmsg(MSG_RTN_GET_DOORBELL)
	s_mov_b32 ttmp2, m0
	s_waitcnt lgkmcnt(0)
	s_and_b32 s0, s0, 0x3ff
	s_delay_alu instid0(SALU_CYCLE_1) | instskip(NEXT) | instid1(SALU_CYCLE_1)
	s_bitset1_b32 s0, 10
	s_mov_b32 m0, s0
	s_sendmsg sendmsg(MSG_INTERRUPT)
	s_mov_b32 m0, ttmp2
.LBB4_1538:                             ; =>This Inner Loop Header: Depth=1
	s_sethalt 5
	s_branch .LBB4_1538
.LBB4_1539:
	s_trap 2
	s_sendmsg_rtn_b32 s0, sendmsg(MSG_RTN_GET_DOORBELL)
	s_mov_b32 ttmp2, m0
	s_waitcnt lgkmcnt(0)
	s_and_b32 s0, s0, 0x3ff
	s_delay_alu instid0(SALU_CYCLE_1) | instskip(NEXT) | instid1(SALU_CYCLE_1)
	s_bitset1_b32 s0, 10
	s_mov_b32 m0, s0
	s_sendmsg sendmsg(MSG_INTERRUPT)
	s_mov_b32 m0, ttmp2
.LBB4_1540:                             ; =>This Inner Loop Header: Depth=1
	s_sethalt 5
	s_branch .LBB4_1540
.LBB4_1541:
	s_trap 2
	s_sendmsg_rtn_b32 s0, sendmsg(MSG_RTN_GET_DOORBELL)
	s_mov_b32 ttmp2, m0
	s_waitcnt lgkmcnt(0)
	s_and_b32 s0, s0, 0x3ff
	s_delay_alu instid0(SALU_CYCLE_1) | instskip(NEXT) | instid1(SALU_CYCLE_1)
	s_bitset1_b32 s0, 10
	s_mov_b32 m0, s0
	s_sendmsg sendmsg(MSG_INTERRUPT)
	s_mov_b32 m0, ttmp2
.LBB4_1542:                             ; =>This Inner Loop Header: Depth=1
	s_sethalt 5
	s_branch .LBB4_1542
.LBB4_1543:
	s_trap 2
	s_sendmsg_rtn_b32 s0, sendmsg(MSG_RTN_GET_DOORBELL)
	s_mov_b32 ttmp2, m0
	s_waitcnt lgkmcnt(0)
	s_and_b32 s0, s0, 0x3ff
	s_delay_alu instid0(SALU_CYCLE_1) | instskip(NEXT) | instid1(SALU_CYCLE_1)
	s_bitset1_b32 s0, 10
	s_mov_b32 m0, s0
	s_sendmsg sendmsg(MSG_INTERRUPT)
	s_mov_b32 m0, ttmp2
.LBB4_1544:                             ; =>This Inner Loop Header: Depth=1
	s_sethalt 5
	s_branch .LBB4_1544
.LBB4_1545:                             ;   in Loop: Header=BB4_1546 Depth=1
	s_or_b32 exec_lo, exec_lo, s12
	s_delay_alu instid0(SALU_CYCLE_1) | instskip(NEXT) | instid1(SALU_CYCLE_1)
	s_and_b32 s10, exec_lo, s11
	s_or_b32 s4, s10, s4
	s_and_not1_b32 s5, s5, exec_lo
	s_and_b32 s10, s6, exec_lo
	s_delay_alu instid0(SALU_CYCLE_1)
	s_or_b32 s5, s5, s10
	s_and_not1_b32 exec_lo, exec_lo, s4
	s_cbranch_execz .LBB4_1656
.LBB4_1546:                             ; =>This Inner Loop Header: Depth=1
	s_add_i32 s7, s7, 1
                                        ; implicit-def: $sgpr11
	s_delay_alu instid0(SALU_CYCLE_1) | instskip(SKIP_1) | instid1(SALU_CYCLE_1)
	s_cmpk_lg_i32 s7, 0x2710
	s_cselect_b32 s10, -1, 0
	s_and_b32 vcc_lo, exec_lo, s10
	s_cbranch_vccz .LBB4_1550
.LBB4_1547:                             ;   in Loop: Header=BB4_1546 Depth=1
	s_and_not1_b32 s6, s6, exec_lo
	s_and_b32 s12, s11, exec_lo
	s_mov_b32 s11, -1
	s_or_b32 s6, s6, s12
	s_and_saveexec_b32 s12, s10
	s_cbranch_execz .LBB4_1545
; %bb.1548:                             ;   in Loop: Header=BB4_1546 Depth=1
	s_sleep 1
	s_cbranch_execnz .LBB4_1572
; %bb.1549:                             ;   in Loop: Header=BB4_1546 Depth=1
	ds_load_b64 v[2:3], v0
	s_and_not1_b32 s6, s6, exec_lo
	s_waitcnt lgkmcnt(0)
	v_cmp_ge_u64_e32 vcc_lo, v[2:3], v[0:1]
	s_or_not1_b32 s11, vcc_lo, exec_lo
	s_branch .LBB4_1545
.LBB4_1550:                             ;   in Loop: Header=BB4_1546 Depth=1
	s_cbranch_execnz .LBB4_1580
; %bb.1551:                             ;   in Loop: Header=BB4_1546 Depth=1
	ds_load_b64 v[2:3], v0
	s_and_not1_b32 s10, s10, exec_lo
	s_mov_b32 s7, 0
	s_mov_b32 s11, -1
	s_waitcnt lgkmcnt(0)
	flat_load_b32 v2, v[2:3] glc
	s_waitcnt vmcnt(0) lgkmcnt(0)
	buffer_gl1_inv
	buffer_gl0_inv
	v_cmp_eq_u32_e32 vcc_lo, 0, v2
	s_and_b32 s12, vcc_lo, exec_lo
	s_delay_alu instid0(SALU_CYCLE_1)
	s_or_b32 s10, s10, s12
	s_branch .LBB4_1547
.LBB4_1552:
	s_trap 2
	s_sendmsg_rtn_b32 s0, sendmsg(MSG_RTN_GET_DOORBELL)
	s_mov_b32 ttmp2, m0
	s_waitcnt lgkmcnt(0)
	s_and_b32 s0, s0, 0x3ff
	s_delay_alu instid0(SALU_CYCLE_1) | instskip(NEXT) | instid1(SALU_CYCLE_1)
	s_bitset1_b32 s0, 10
	s_mov_b32 m0, s0
	s_sendmsg sendmsg(MSG_INTERRUPT)
	s_mov_b32 m0, ttmp2
.LBB4_1553:                             ; =>This Inner Loop Header: Depth=1
	s_sethalt 5
	s_branch .LBB4_1553
.LBB4_1554:
	s_trap 2
	s_sendmsg_rtn_b32 s0, sendmsg(MSG_RTN_GET_DOORBELL)
	s_mov_b32 ttmp2, m0
	s_waitcnt lgkmcnt(0)
	s_and_b32 s0, s0, 0x3ff
	s_delay_alu instid0(SALU_CYCLE_1) | instskip(NEXT) | instid1(SALU_CYCLE_1)
	s_bitset1_b32 s0, 10
	s_mov_b32 m0, s0
	s_sendmsg sendmsg(MSG_INTERRUPT)
	s_mov_b32 m0, ttmp2
.LBB4_1555:                             ; =>This Inner Loop Header: Depth=1
	s_sethalt 5
	s_branch .LBB4_1555
.LBB4_1556:
	s_trap 2
	s_sendmsg_rtn_b32 s0, sendmsg(MSG_RTN_GET_DOORBELL)
	s_mov_b32 ttmp2, m0
	s_waitcnt lgkmcnt(0)
	s_and_b32 s0, s0, 0x3ff
	s_delay_alu instid0(SALU_CYCLE_1) | instskip(NEXT) | instid1(SALU_CYCLE_1)
	s_bitset1_b32 s0, 10
	s_mov_b32 m0, s0
	s_sendmsg sendmsg(MSG_INTERRUPT)
	s_mov_b32 m0, ttmp2
.LBB4_1557:                             ; =>This Inner Loop Header: Depth=1
	s_sethalt 5
	s_branch .LBB4_1557
.LBB4_1558:
	s_trap 2
	s_sendmsg_rtn_b32 s0, sendmsg(MSG_RTN_GET_DOORBELL)
	s_mov_b32 ttmp2, m0
	s_waitcnt lgkmcnt(0)
	s_and_b32 s0, s0, 0x3ff
	s_delay_alu instid0(SALU_CYCLE_1) | instskip(NEXT) | instid1(SALU_CYCLE_1)
	s_bitset1_b32 s0, 10
	s_mov_b32 m0, s0
	s_sendmsg sendmsg(MSG_INTERRUPT)
	s_mov_b32 m0, ttmp2
.LBB4_1559:                             ; =>This Inner Loop Header: Depth=1
	s_sethalt 5
	s_branch .LBB4_1559
.LBB4_1560:
	s_trap 2
	s_sendmsg_rtn_b32 s0, sendmsg(MSG_RTN_GET_DOORBELL)
	s_mov_b32 ttmp2, m0
	s_waitcnt lgkmcnt(0)
	s_and_b32 s0, s0, 0x3ff
	s_delay_alu instid0(SALU_CYCLE_1) | instskip(NEXT) | instid1(SALU_CYCLE_1)
	s_bitset1_b32 s0, 10
	s_mov_b32 m0, s0
	s_sendmsg sendmsg(MSG_INTERRUPT)
	s_mov_b32 m0, ttmp2
.LBB4_1561:                             ; =>This Inner Loop Header: Depth=1
	s_sethalt 5
	s_branch .LBB4_1561
.LBB4_1562:
	s_trap 2
	s_sendmsg_rtn_b32 s0, sendmsg(MSG_RTN_GET_DOORBELL)
	s_mov_b32 ttmp2, m0
	s_waitcnt lgkmcnt(0)
	s_and_b32 s0, s0, 0x3ff
	s_delay_alu instid0(SALU_CYCLE_1) | instskip(NEXT) | instid1(SALU_CYCLE_1)
	s_bitset1_b32 s0, 10
	s_mov_b32 m0, s0
	s_sendmsg sendmsg(MSG_INTERRUPT)
	s_mov_b32 m0, ttmp2
.LBB4_1563:                             ; =>This Inner Loop Header: Depth=1
	s_sethalt 5
	s_branch .LBB4_1563
.LBB4_1564:
	s_trap 2
	s_sendmsg_rtn_b32 s0, sendmsg(MSG_RTN_GET_DOORBELL)
	s_mov_b32 ttmp2, m0
	s_waitcnt lgkmcnt(0)
	s_and_b32 s0, s0, 0x3ff
	s_delay_alu instid0(SALU_CYCLE_1) | instskip(NEXT) | instid1(SALU_CYCLE_1)
	s_bitset1_b32 s0, 10
	s_mov_b32 m0, s0
	s_sendmsg sendmsg(MSG_INTERRUPT)
	s_mov_b32 m0, ttmp2
.LBB4_1565:                             ; =>This Inner Loop Header: Depth=1
	s_sethalt 5
	s_branch .LBB4_1565
.LBB4_1566:
	s_trap 2
	s_sendmsg_rtn_b32 s0, sendmsg(MSG_RTN_GET_DOORBELL)
	s_mov_b32 ttmp2, m0
	s_waitcnt lgkmcnt(0)
	s_and_b32 s0, s0, 0x3ff
	s_delay_alu instid0(SALU_CYCLE_1) | instskip(NEXT) | instid1(SALU_CYCLE_1)
	s_bitset1_b32 s0, 10
	s_mov_b32 m0, s0
	s_sendmsg sendmsg(MSG_INTERRUPT)
	s_mov_b32 m0, ttmp2
.LBB4_1567:                             ; =>This Inner Loop Header: Depth=1
	s_sethalt 5
	s_branch .LBB4_1567
.LBB4_1568:
	s_trap 2
	s_sendmsg_rtn_b32 s0, sendmsg(MSG_RTN_GET_DOORBELL)
	s_mov_b32 ttmp2, m0
	s_waitcnt lgkmcnt(0)
	s_and_b32 s0, s0, 0x3ff
	s_delay_alu instid0(SALU_CYCLE_1) | instskip(NEXT) | instid1(SALU_CYCLE_1)
	s_bitset1_b32 s0, 10
	s_mov_b32 m0, s0
	s_sendmsg sendmsg(MSG_INTERRUPT)
	s_mov_b32 m0, ttmp2
.LBB4_1569:                             ; =>This Inner Loop Header: Depth=1
	s_sethalt 5
	s_branch .LBB4_1569
.LBB4_1570:
	s_trap 2
	s_sendmsg_rtn_b32 s0, sendmsg(MSG_RTN_GET_DOORBELL)
	s_mov_b32 ttmp2, m0
	s_waitcnt lgkmcnt(0)
	s_and_b32 s0, s0, 0x3ff
	s_delay_alu instid0(SALU_CYCLE_1) | instskip(NEXT) | instid1(SALU_CYCLE_1)
	s_bitset1_b32 s0, 10
	s_mov_b32 m0, s0
	s_sendmsg sendmsg(MSG_INTERRUPT)
	s_mov_b32 m0, ttmp2
.LBB4_1571:                             ; =>This Inner Loop Header: Depth=1
	s_sethalt 5
	s_branch .LBB4_1571
.LBB4_1572:
	s_trap 2
	s_sendmsg_rtn_b32 s0, sendmsg(MSG_RTN_GET_DOORBELL)
	s_mov_b32 ttmp2, m0
	s_waitcnt lgkmcnt(0)
	s_and_b32 s0, s0, 0x3ff
	s_delay_alu instid0(SALU_CYCLE_1) | instskip(NEXT) | instid1(SALU_CYCLE_1)
	s_bitset1_b32 s0, 10
	s_mov_b32 m0, s0
	s_sendmsg sendmsg(MSG_INTERRUPT)
	s_mov_b32 m0, ttmp2
.LBB4_1573:                             ; =>This Inner Loop Header: Depth=1
	s_sethalt 5
	s_branch .LBB4_1573
.LBB4_1574:
	s_trap 2
	s_sendmsg_rtn_b32 s0, sendmsg(MSG_RTN_GET_DOORBELL)
	s_mov_b32 ttmp2, m0
	s_waitcnt lgkmcnt(0)
	s_and_b32 s0, s0, 0x3ff
	s_delay_alu instid0(SALU_CYCLE_1) | instskip(NEXT) | instid1(SALU_CYCLE_1)
	s_bitset1_b32 s0, 10
	s_mov_b32 m0, s0
	s_sendmsg sendmsg(MSG_INTERRUPT)
	s_mov_b32 m0, ttmp2
.LBB4_1575:                             ; =>This Inner Loop Header: Depth=1
	s_sethalt 5
	s_branch .LBB4_1575
.LBB4_1576:
	s_trap 2
	s_sendmsg_rtn_b32 s0, sendmsg(MSG_RTN_GET_DOORBELL)
	s_mov_b32 ttmp2, m0
	s_waitcnt lgkmcnt(0)
	s_and_b32 s0, s0, 0x3ff
	s_delay_alu instid0(SALU_CYCLE_1) | instskip(NEXT) | instid1(SALU_CYCLE_1)
	s_bitset1_b32 s0, 10
	s_mov_b32 m0, s0
	s_sendmsg sendmsg(MSG_INTERRUPT)
	s_mov_b32 m0, ttmp2
.LBB4_1577:                             ; =>This Inner Loop Header: Depth=1
	s_sethalt 5
	s_branch .LBB4_1577
.LBB4_1578:
	s_trap 2
	s_sendmsg_rtn_b32 s0, sendmsg(MSG_RTN_GET_DOORBELL)
	s_mov_b32 ttmp2, m0
	s_waitcnt lgkmcnt(0)
	s_and_b32 s0, s0, 0x3ff
	s_delay_alu instid0(SALU_CYCLE_1) | instskip(NEXT) | instid1(SALU_CYCLE_1)
	s_bitset1_b32 s0, 10
	s_mov_b32 m0, s0
	s_sendmsg sendmsg(MSG_INTERRUPT)
	s_mov_b32 m0, ttmp2
.LBB4_1579:                             ; =>This Inner Loop Header: Depth=1
	s_sethalt 5
	s_branch .LBB4_1579
.LBB4_1580:
	s_trap 2
	s_sendmsg_rtn_b32 s0, sendmsg(MSG_RTN_GET_DOORBELL)
	s_mov_b32 ttmp2, m0
	s_waitcnt lgkmcnt(0)
	s_and_b32 s0, s0, 0x3ff
	s_delay_alu instid0(SALU_CYCLE_1) | instskip(NEXT) | instid1(SALU_CYCLE_1)
	s_bitset1_b32 s0, 10
	s_mov_b32 m0, s0
	s_sendmsg sendmsg(MSG_INTERRUPT)
	s_mov_b32 m0, ttmp2
.LBB4_1581:                             ; =>This Inner Loop Header: Depth=1
	s_sethalt 5
	s_branch .LBB4_1581
.LBB4_1582:
	s_trap 2
	s_sendmsg_rtn_b32 s0, sendmsg(MSG_RTN_GET_DOORBELL)
	s_mov_b32 ttmp2, m0
	s_waitcnt lgkmcnt(0)
	s_and_b32 s0, s0, 0x3ff
	s_delay_alu instid0(SALU_CYCLE_1) | instskip(NEXT) | instid1(SALU_CYCLE_1)
	s_bitset1_b32 s0, 10
	s_mov_b32 m0, s0
	s_sendmsg sendmsg(MSG_INTERRUPT)
	s_mov_b32 m0, ttmp2
.LBB4_1583:                             ; =>This Inner Loop Header: Depth=1
	s_sethalt 5
	s_branch .LBB4_1583
.LBB4_1584:
	s_trap 2
	s_sendmsg_rtn_b32 s0, sendmsg(MSG_RTN_GET_DOORBELL)
	s_mov_b32 ttmp2, m0
	s_waitcnt lgkmcnt(0)
	s_and_b32 s0, s0, 0x3ff
	s_delay_alu instid0(SALU_CYCLE_1) | instskip(NEXT) | instid1(SALU_CYCLE_1)
	s_bitset1_b32 s0, 10
	s_mov_b32 m0, s0
	s_sendmsg sendmsg(MSG_INTERRUPT)
	s_mov_b32 m0, ttmp2
.LBB4_1585:                             ; =>This Inner Loop Header: Depth=1
	s_sethalt 5
	s_branch .LBB4_1585
.LBB4_1586:
	s_trap 2
	s_sendmsg_rtn_b32 s0, sendmsg(MSG_RTN_GET_DOORBELL)
	s_mov_b32 ttmp2, m0
	s_waitcnt lgkmcnt(0)
	s_and_b32 s0, s0, 0x3ff
	s_delay_alu instid0(SALU_CYCLE_1) | instskip(NEXT) | instid1(SALU_CYCLE_1)
	s_bitset1_b32 s0, 10
	s_mov_b32 m0, s0
	s_sendmsg sendmsg(MSG_INTERRUPT)
	s_mov_b32 m0, ttmp2
.LBB4_1587:                             ; =>This Inner Loop Header: Depth=1
	s_sethalt 5
	s_branch .LBB4_1587
.LBB4_1588:
	s_trap 2
	s_sendmsg_rtn_b32 s0, sendmsg(MSG_RTN_GET_DOORBELL)
	s_mov_b32 ttmp2, m0
	s_waitcnt lgkmcnt(0)
	s_and_b32 s0, s0, 0x3ff
	s_delay_alu instid0(SALU_CYCLE_1) | instskip(NEXT) | instid1(SALU_CYCLE_1)
	s_bitset1_b32 s0, 10
	s_mov_b32 m0, s0
	s_sendmsg sendmsg(MSG_INTERRUPT)
	s_mov_b32 m0, ttmp2
.LBB4_1589:                             ; =>This Inner Loop Header: Depth=1
	s_sethalt 5
	s_branch .LBB4_1589
.LBB4_1590:
	s_trap 2
	s_sendmsg_rtn_b32 s0, sendmsg(MSG_RTN_GET_DOORBELL)
	s_mov_b32 ttmp2, m0
	s_waitcnt lgkmcnt(0)
	s_and_b32 s0, s0, 0x3ff
	s_delay_alu instid0(SALU_CYCLE_1) | instskip(NEXT) | instid1(SALU_CYCLE_1)
	s_bitset1_b32 s0, 10
	s_mov_b32 m0, s0
	s_sendmsg sendmsg(MSG_INTERRUPT)
	s_mov_b32 m0, ttmp2
.LBB4_1591:                             ; =>This Inner Loop Header: Depth=1
	s_sethalt 5
	s_branch .LBB4_1591
.LBB4_1592:
	s_trap 2
	s_sendmsg_rtn_b32 s0, sendmsg(MSG_RTN_GET_DOORBELL)
	s_mov_b32 ttmp2, m0
	s_waitcnt lgkmcnt(0)
	s_and_b32 s0, s0, 0x3ff
	s_delay_alu instid0(SALU_CYCLE_1) | instskip(NEXT) | instid1(SALU_CYCLE_1)
	s_bitset1_b32 s0, 10
	s_mov_b32 m0, s0
	s_sendmsg sendmsg(MSG_INTERRUPT)
	s_mov_b32 m0, ttmp2
.LBB4_1593:                             ; =>This Inner Loop Header: Depth=1
	s_sethalt 5
	s_branch .LBB4_1593
.LBB4_1594:
	s_trap 2
	s_sendmsg_rtn_b32 s0, sendmsg(MSG_RTN_GET_DOORBELL)
	s_mov_b32 ttmp2, m0
	s_waitcnt lgkmcnt(0)
	s_and_b32 s0, s0, 0x3ff
	s_delay_alu instid0(SALU_CYCLE_1) | instskip(NEXT) | instid1(SALU_CYCLE_1)
	s_bitset1_b32 s0, 10
	s_mov_b32 m0, s0
	s_sendmsg sendmsg(MSG_INTERRUPT)
	s_mov_b32 m0, ttmp2
.LBB4_1595:                             ; =>This Inner Loop Header: Depth=1
	s_sethalt 5
	s_branch .LBB4_1595
.LBB4_1596:
	s_trap 2
	s_sendmsg_rtn_b32 s0, sendmsg(MSG_RTN_GET_DOORBELL)
	s_mov_b32 ttmp2, m0
	s_waitcnt lgkmcnt(0)
	s_and_b32 s0, s0, 0x3ff
	s_delay_alu instid0(SALU_CYCLE_1) | instskip(NEXT) | instid1(SALU_CYCLE_1)
	s_bitset1_b32 s0, 10
	s_mov_b32 m0, s0
	s_sendmsg sendmsg(MSG_INTERRUPT)
	s_mov_b32 m0, ttmp2
.LBB4_1597:                             ; =>This Inner Loop Header: Depth=1
	s_sethalt 5
	s_branch .LBB4_1597
.LBB4_1598:
	s_trap 2
	s_sendmsg_rtn_b32 s0, sendmsg(MSG_RTN_GET_DOORBELL)
	s_mov_b32 ttmp2, m0
	s_waitcnt lgkmcnt(0)
	s_and_b32 s0, s0, 0x3ff
	s_delay_alu instid0(SALU_CYCLE_1) | instskip(NEXT) | instid1(SALU_CYCLE_1)
	s_bitset1_b32 s0, 10
	s_mov_b32 m0, s0
	s_sendmsg sendmsg(MSG_INTERRUPT)
	s_mov_b32 m0, ttmp2
.LBB4_1599:                             ; =>This Inner Loop Header: Depth=1
	s_sethalt 5
	s_branch .LBB4_1599
.LBB4_1600:
	s_trap 2
	s_sendmsg_rtn_b32 s0, sendmsg(MSG_RTN_GET_DOORBELL)
	s_mov_b32 ttmp2, m0
	s_waitcnt lgkmcnt(0)
	s_and_b32 s0, s0, 0x3ff
	s_delay_alu instid0(SALU_CYCLE_1) | instskip(NEXT) | instid1(SALU_CYCLE_1)
	s_bitset1_b32 s0, 10
	s_mov_b32 m0, s0
	s_sendmsg sendmsg(MSG_INTERRUPT)
	s_mov_b32 m0, ttmp2
.LBB4_1601:                             ; =>This Inner Loop Header: Depth=1
	s_sethalt 5
	s_branch .LBB4_1601
.LBB4_1602:
	s_trap 2
	s_sendmsg_rtn_b32 s0, sendmsg(MSG_RTN_GET_DOORBELL)
	s_mov_b32 ttmp2, m0
	s_waitcnt lgkmcnt(0)
	s_and_b32 s0, s0, 0x3ff
	s_delay_alu instid0(SALU_CYCLE_1) | instskip(NEXT) | instid1(SALU_CYCLE_1)
	s_bitset1_b32 s0, 10
	s_mov_b32 m0, s0
	s_sendmsg sendmsg(MSG_INTERRUPT)
	s_mov_b32 m0, ttmp2
.LBB4_1603:                             ; =>This Inner Loop Header: Depth=1
	s_sethalt 5
	s_branch .LBB4_1603
.LBB4_1604:
	s_trap 2
	s_sendmsg_rtn_b32 s0, sendmsg(MSG_RTN_GET_DOORBELL)
	s_mov_b32 ttmp2, m0
	s_waitcnt lgkmcnt(0)
	s_and_b32 s0, s0, 0x3ff
	s_delay_alu instid0(SALU_CYCLE_1) | instskip(NEXT) | instid1(SALU_CYCLE_1)
	s_bitset1_b32 s0, 10
	s_mov_b32 m0, s0
	s_sendmsg sendmsg(MSG_INTERRUPT)
	s_mov_b32 m0, ttmp2
.LBB4_1605:                             ; =>This Inner Loop Header: Depth=1
	s_sethalt 5
	s_branch .LBB4_1605
.LBB4_1606:
	s_trap 2
	s_sendmsg_rtn_b32 s0, sendmsg(MSG_RTN_GET_DOORBELL)
	s_mov_b32 ttmp2, m0
	s_waitcnt lgkmcnt(0)
	s_and_b32 s0, s0, 0x3ff
	s_delay_alu instid0(SALU_CYCLE_1) | instskip(NEXT) | instid1(SALU_CYCLE_1)
	s_bitset1_b32 s0, 10
	s_mov_b32 m0, s0
	s_sendmsg sendmsg(MSG_INTERRUPT)
	s_mov_b32 m0, ttmp2
.LBB4_1607:                             ; =>This Inner Loop Header: Depth=1
	s_sethalt 5
	s_branch .LBB4_1607
.LBB4_1608:
	s_trap 2
	s_sendmsg_rtn_b32 s0, sendmsg(MSG_RTN_GET_DOORBELL)
	s_mov_b32 ttmp2, m0
	s_waitcnt lgkmcnt(0)
	s_and_b32 s0, s0, 0x3ff
	s_delay_alu instid0(SALU_CYCLE_1) | instskip(NEXT) | instid1(SALU_CYCLE_1)
	s_bitset1_b32 s0, 10
	s_mov_b32 m0, s0
	s_sendmsg sendmsg(MSG_INTERRUPT)
	s_mov_b32 m0, ttmp2
.LBB4_1609:                             ; =>This Inner Loop Header: Depth=1
	s_sethalt 5
	s_branch .LBB4_1609
.LBB4_1610:
	s_trap 2
	s_sendmsg_rtn_b32 s0, sendmsg(MSG_RTN_GET_DOORBELL)
	s_mov_b32 ttmp2, m0
	s_waitcnt lgkmcnt(0)
	s_and_b32 s0, s0, 0x3ff
	s_delay_alu instid0(SALU_CYCLE_1) | instskip(NEXT) | instid1(SALU_CYCLE_1)
	s_bitset1_b32 s0, 10
	s_mov_b32 m0, s0
	s_sendmsg sendmsg(MSG_INTERRUPT)
	s_mov_b32 m0, ttmp2
.LBB4_1611:                             ; =>This Inner Loop Header: Depth=1
	s_sethalt 5
	s_branch .LBB4_1611
.LBB4_1612:
	s_trap 2
	s_sendmsg_rtn_b32 s0, sendmsg(MSG_RTN_GET_DOORBELL)
	s_mov_b32 ttmp2, m0
	s_waitcnt lgkmcnt(0)
	s_and_b32 s0, s0, 0x3ff
	s_delay_alu instid0(SALU_CYCLE_1) | instskip(NEXT) | instid1(SALU_CYCLE_1)
	s_bitset1_b32 s0, 10
	s_mov_b32 m0, s0
	s_sendmsg sendmsg(MSG_INTERRUPT)
	s_mov_b32 m0, ttmp2
.LBB4_1613:                             ; =>This Inner Loop Header: Depth=1
	s_sethalt 5
	s_branch .LBB4_1613
.LBB4_1614:
	s_trap 2
	s_sendmsg_rtn_b32 s0, sendmsg(MSG_RTN_GET_DOORBELL)
	s_mov_b32 ttmp2, m0
	s_waitcnt lgkmcnt(0)
	s_and_b32 s0, s0, 0x3ff
	s_delay_alu instid0(SALU_CYCLE_1) | instskip(NEXT) | instid1(SALU_CYCLE_1)
	s_bitset1_b32 s0, 10
	s_mov_b32 m0, s0
	s_sendmsg sendmsg(MSG_INTERRUPT)
	s_mov_b32 m0, ttmp2
.LBB4_1615:                             ; =>This Inner Loop Header: Depth=1
	s_sethalt 5
	s_branch .LBB4_1615
.LBB4_1616:
	s_trap 2
	s_sendmsg_rtn_b32 s0, sendmsg(MSG_RTN_GET_DOORBELL)
	s_mov_b32 ttmp2, m0
	s_waitcnt lgkmcnt(0)
	s_and_b32 s0, s0, 0x3ff
	s_delay_alu instid0(SALU_CYCLE_1) | instskip(NEXT) | instid1(SALU_CYCLE_1)
	s_bitset1_b32 s0, 10
	s_mov_b32 m0, s0
	s_sendmsg sendmsg(MSG_INTERRUPT)
	s_mov_b32 m0, ttmp2
.LBB4_1617:                             ; =>This Inner Loop Header: Depth=1
	s_sethalt 5
	s_branch .LBB4_1617
.LBB4_1618:
	s_trap 2
	s_sendmsg_rtn_b32 s0, sendmsg(MSG_RTN_GET_DOORBELL)
	s_mov_b32 ttmp2, m0
	s_waitcnt lgkmcnt(0)
	s_and_b32 s0, s0, 0x3ff
	s_delay_alu instid0(SALU_CYCLE_1) | instskip(NEXT) | instid1(SALU_CYCLE_1)
	s_bitset1_b32 s0, 10
	s_mov_b32 m0, s0
	s_sendmsg sendmsg(MSG_INTERRUPT)
	s_mov_b32 m0, ttmp2
.LBB4_1619:                             ; =>This Inner Loop Header: Depth=1
	s_sethalt 5
	s_branch .LBB4_1619
.LBB4_1620:
	s_trap 2
	s_sendmsg_rtn_b32 s0, sendmsg(MSG_RTN_GET_DOORBELL)
	s_mov_b32 ttmp2, m0
	s_waitcnt lgkmcnt(0)
	s_and_b32 s0, s0, 0x3ff
	s_delay_alu instid0(SALU_CYCLE_1) | instskip(NEXT) | instid1(SALU_CYCLE_1)
	s_bitset1_b32 s0, 10
	s_mov_b32 m0, s0
	s_sendmsg sendmsg(MSG_INTERRUPT)
	s_mov_b32 m0, ttmp2
.LBB4_1621:                             ; =>This Inner Loop Header: Depth=1
	s_sethalt 5
	s_branch .LBB4_1621
.LBB4_1622:
	s_trap 2
	s_sendmsg_rtn_b32 s0, sendmsg(MSG_RTN_GET_DOORBELL)
	s_mov_b32 ttmp2, m0
	s_waitcnt lgkmcnt(0)
	s_and_b32 s0, s0, 0x3ff
	s_delay_alu instid0(SALU_CYCLE_1) | instskip(NEXT) | instid1(SALU_CYCLE_1)
	s_bitset1_b32 s0, 10
	s_mov_b32 m0, s0
	s_sendmsg sendmsg(MSG_INTERRUPT)
	s_mov_b32 m0, ttmp2
.LBB4_1623:                             ; =>This Inner Loop Header: Depth=1
	s_sethalt 5
	s_branch .LBB4_1623
.LBB4_1624:
	s_trap 2
	s_sendmsg_rtn_b32 s0, sendmsg(MSG_RTN_GET_DOORBELL)
	s_mov_b32 ttmp2, m0
	s_waitcnt lgkmcnt(0)
	s_and_b32 s0, s0, 0x3ff
	s_delay_alu instid0(SALU_CYCLE_1) | instskip(NEXT) | instid1(SALU_CYCLE_1)
	s_bitset1_b32 s0, 10
	s_mov_b32 m0, s0
	s_sendmsg sendmsg(MSG_INTERRUPT)
	s_mov_b32 m0, ttmp2
.LBB4_1625:                             ; =>This Inner Loop Header: Depth=1
	s_sethalt 5
	s_branch .LBB4_1625
.LBB4_1626:
	s_trap 2
	s_sendmsg_rtn_b32 s0, sendmsg(MSG_RTN_GET_DOORBELL)
	s_mov_b32 ttmp2, m0
	s_waitcnt lgkmcnt(0)
	s_and_b32 s0, s0, 0x3ff
	s_delay_alu instid0(SALU_CYCLE_1) | instskip(NEXT) | instid1(SALU_CYCLE_1)
	s_bitset1_b32 s0, 10
	s_mov_b32 m0, s0
	s_sendmsg sendmsg(MSG_INTERRUPT)
	s_mov_b32 m0, ttmp2
.LBB4_1627:                             ; =>This Inner Loop Header: Depth=1
	s_sethalt 5
	s_branch .LBB4_1627
.LBB4_1628:
	s_trap 2
	s_sendmsg_rtn_b32 s0, sendmsg(MSG_RTN_GET_DOORBELL)
	s_mov_b32 ttmp2, m0
	s_waitcnt lgkmcnt(0)
	s_and_b32 s0, s0, 0x3ff
	s_delay_alu instid0(SALU_CYCLE_1) | instskip(NEXT) | instid1(SALU_CYCLE_1)
	s_bitset1_b32 s0, 10
	s_mov_b32 m0, s0
	s_sendmsg sendmsg(MSG_INTERRUPT)
	s_mov_b32 m0, ttmp2
.LBB4_1629:                             ; =>This Inner Loop Header: Depth=1
	s_sethalt 5
	s_branch .LBB4_1629
.LBB4_1630:
	s_trap 2
	s_sendmsg_rtn_b32 s0, sendmsg(MSG_RTN_GET_DOORBELL)
	s_mov_b32 ttmp2, m0
	s_waitcnt lgkmcnt(0)
	s_and_b32 s0, s0, 0x3ff
	s_delay_alu instid0(SALU_CYCLE_1) | instskip(NEXT) | instid1(SALU_CYCLE_1)
	s_bitset1_b32 s0, 10
	s_mov_b32 m0, s0
	s_sendmsg sendmsg(MSG_INTERRUPT)
	s_mov_b32 m0, ttmp2
.LBB4_1631:                             ; =>This Inner Loop Header: Depth=1
	s_sethalt 5
	s_branch .LBB4_1631
.LBB4_1632:
	s_trap 2
	s_sendmsg_rtn_b32 s0, sendmsg(MSG_RTN_GET_DOORBELL)
	s_mov_b32 ttmp2, m0
	s_waitcnt lgkmcnt(0)
	s_and_b32 s0, s0, 0x3ff
	s_delay_alu instid0(SALU_CYCLE_1) | instskip(NEXT) | instid1(SALU_CYCLE_1)
	s_bitset1_b32 s0, 10
	s_mov_b32 m0, s0
	s_sendmsg sendmsg(MSG_INTERRUPT)
	s_mov_b32 m0, ttmp2
.LBB4_1633:                             ; =>This Inner Loop Header: Depth=1
	s_sethalt 5
	s_branch .LBB4_1633
.LBB4_1634:
	s_trap 2
	s_sendmsg_rtn_b32 s0, sendmsg(MSG_RTN_GET_DOORBELL)
	s_mov_b32 ttmp2, m0
	s_waitcnt lgkmcnt(0)
	s_and_b32 s0, s0, 0x3ff
	s_delay_alu instid0(SALU_CYCLE_1) | instskip(NEXT) | instid1(SALU_CYCLE_1)
	s_bitset1_b32 s0, 10
	s_mov_b32 m0, s0
	s_sendmsg sendmsg(MSG_INTERRUPT)
	s_mov_b32 m0, ttmp2
.LBB4_1635:                             ; =>This Inner Loop Header: Depth=1
	s_sethalt 5
	s_branch .LBB4_1635
.LBB4_1636:
	s_trap 2
	s_sendmsg_rtn_b32 s0, sendmsg(MSG_RTN_GET_DOORBELL)
	s_mov_b32 ttmp2, m0
	s_waitcnt lgkmcnt(0)
	s_and_b32 s0, s0, 0x3ff
	s_delay_alu instid0(SALU_CYCLE_1) | instskip(NEXT) | instid1(SALU_CYCLE_1)
	s_bitset1_b32 s0, 10
	s_mov_b32 m0, s0
	s_sendmsg sendmsg(MSG_INTERRUPT)
	s_mov_b32 m0, ttmp2
.LBB4_1637:                             ; =>This Inner Loop Header: Depth=1
	s_sethalt 5
	s_branch .LBB4_1637
.LBB4_1638:
	s_trap 2
	s_sendmsg_rtn_b32 s0, sendmsg(MSG_RTN_GET_DOORBELL)
	s_mov_b32 ttmp2, m0
	s_waitcnt lgkmcnt(0)
	s_and_b32 s0, s0, 0x3ff
	s_delay_alu instid0(SALU_CYCLE_1) | instskip(NEXT) | instid1(SALU_CYCLE_1)
	s_bitset1_b32 s0, 10
	s_mov_b32 m0, s0
	s_sendmsg sendmsg(MSG_INTERRUPT)
	s_mov_b32 m0, ttmp2
.LBB4_1639:                             ; =>This Inner Loop Header: Depth=1
	s_sethalt 5
	s_branch .LBB4_1639
.LBB4_1640:
	s_trap 2
	s_sendmsg_rtn_b32 s0, sendmsg(MSG_RTN_GET_DOORBELL)
	s_mov_b32 ttmp2, m0
	s_waitcnt lgkmcnt(0)
	s_and_b32 s0, s0, 0x3ff
	s_delay_alu instid0(SALU_CYCLE_1) | instskip(NEXT) | instid1(SALU_CYCLE_1)
	s_bitset1_b32 s0, 10
	s_mov_b32 m0, s0
	s_sendmsg sendmsg(MSG_INTERRUPT)
	s_mov_b32 m0, ttmp2
.LBB4_1641:                             ; =>This Inner Loop Header: Depth=1
	s_sethalt 5
	s_branch .LBB4_1641
.LBB4_1642:
	s_trap 2
	s_sendmsg_rtn_b32 s0, sendmsg(MSG_RTN_GET_DOORBELL)
	s_mov_b32 ttmp2, m0
	s_waitcnt lgkmcnt(0)
	s_and_b32 s0, s0, 0x3ff
	s_delay_alu instid0(SALU_CYCLE_1) | instskip(NEXT) | instid1(SALU_CYCLE_1)
	s_bitset1_b32 s0, 10
	s_mov_b32 m0, s0
	s_sendmsg sendmsg(MSG_INTERRUPT)
	s_mov_b32 m0, ttmp2
.LBB4_1643:                             ; =>This Inner Loop Header: Depth=1
	s_sethalt 5
	s_branch .LBB4_1643
.LBB4_1644:
	s_trap 2
	s_sendmsg_rtn_b32 s0, sendmsg(MSG_RTN_GET_DOORBELL)
	s_mov_b32 ttmp2, m0
	s_waitcnt lgkmcnt(0)
	s_and_b32 s0, s0, 0x3ff
	s_delay_alu instid0(SALU_CYCLE_1) | instskip(NEXT) | instid1(SALU_CYCLE_1)
	s_bitset1_b32 s0, 10
	s_mov_b32 m0, s0
	s_sendmsg sendmsg(MSG_INTERRUPT)
	s_mov_b32 m0, ttmp2
.LBB4_1645:                             ; =>This Inner Loop Header: Depth=1
	s_sethalt 5
	s_branch .LBB4_1645
.LBB4_1646:
	s_trap 2
	s_sendmsg_rtn_b32 s0, sendmsg(MSG_RTN_GET_DOORBELL)
	s_mov_b32 ttmp2, m0
	s_waitcnt lgkmcnt(0)
	s_and_b32 s0, s0, 0x3ff
	s_delay_alu instid0(SALU_CYCLE_1) | instskip(NEXT) | instid1(SALU_CYCLE_1)
	s_bitset1_b32 s0, 10
	s_mov_b32 m0, s0
	s_sendmsg sendmsg(MSG_INTERRUPT)
	s_mov_b32 m0, ttmp2
.LBB4_1647:                             ; =>This Inner Loop Header: Depth=1
	s_sethalt 5
	s_branch .LBB4_1647
.LBB4_1648:
	s_trap 2
	s_sendmsg_rtn_b32 s0, sendmsg(MSG_RTN_GET_DOORBELL)
	s_mov_b32 ttmp2, m0
	s_waitcnt lgkmcnt(0)
	s_and_b32 s0, s0, 0x3ff
	s_delay_alu instid0(SALU_CYCLE_1) | instskip(NEXT) | instid1(SALU_CYCLE_1)
	s_bitset1_b32 s0, 10
	s_mov_b32 m0, s0
	s_sendmsg sendmsg(MSG_INTERRUPT)
	s_mov_b32 m0, ttmp2
.LBB4_1649:                             ; =>This Inner Loop Header: Depth=1
	s_sethalt 5
	s_branch .LBB4_1649
.LBB4_1650:
	s_trap 2
	s_sendmsg_rtn_b32 s0, sendmsg(MSG_RTN_GET_DOORBELL)
	s_mov_b32 ttmp2, m0
	s_waitcnt lgkmcnt(0)
	s_and_b32 s0, s0, 0x3ff
	s_delay_alu instid0(SALU_CYCLE_1) | instskip(NEXT) | instid1(SALU_CYCLE_1)
	s_bitset1_b32 s0, 10
	s_mov_b32 m0, s0
	s_sendmsg sendmsg(MSG_INTERRUPT)
	s_mov_b32 m0, ttmp2
.LBB4_1651:                             ; =>This Inner Loop Header: Depth=1
	s_sethalt 5
	s_branch .LBB4_1651
.LBB4_1652:
	s_trap 2
	s_sendmsg_rtn_b32 s0, sendmsg(MSG_RTN_GET_DOORBELL)
	s_mov_b32 ttmp2, m0
	s_waitcnt lgkmcnt(0)
	s_and_b32 s0, s0, 0x3ff
	s_delay_alu instid0(SALU_CYCLE_1) | instskip(NEXT) | instid1(SALU_CYCLE_1)
	s_bitset1_b32 s0, 10
	s_mov_b32 m0, s0
	s_sendmsg sendmsg(MSG_INTERRUPT)
	s_mov_b32 m0, ttmp2
.LBB4_1653:                             ; =>This Inner Loop Header: Depth=1
	s_sethalt 5
	s_branch .LBB4_1653
.LBB4_1654:
	s_trap 2
	s_sendmsg_rtn_b32 s0, sendmsg(MSG_RTN_GET_DOORBELL)
	s_mov_b32 ttmp2, m0
	s_waitcnt lgkmcnt(0)
	s_and_b32 s0, s0, 0x3ff
	s_delay_alu instid0(SALU_CYCLE_1) | instskip(NEXT) | instid1(SALU_CYCLE_1)
	s_bitset1_b32 s0, 10
	s_mov_b32 m0, s0
	s_sendmsg sendmsg(MSG_INTERRUPT)
	s_mov_b32 m0, ttmp2
.LBB4_1655:                             ; =>This Inner Loop Header: Depth=1
	s_sethalt 5
	s_branch .LBB4_1655
.LBB4_1656:
	s_or_b32 exec_lo, exec_lo, s4
	s_and_saveexec_b32 s4, s5
	s_delay_alu instid0(SALU_CYCLE_1)
	s_xor_b32 s4, exec_lo, s4
	s_cbranch_execz .LBB4_1658
; %bb.1657:
	v_mov_b32_e32 v0, 1
	ds_store_b32 v0, v0
	s_cbranch_execnz .LBB4_1704
.LBB4_1658:
	s_or_b32 exec_lo, exec_lo, s3
	;;#ASMSTART
	s_wakeup
	;;#ASMEND
.LBB4_1659:
	s_or_b32 exec_lo, exec_lo, s2
.LBB4_1660:
	s_and_not1_saveexec_b32 s1, s1
	s_cbranch_execz .LBB4_1662
; %bb.1661:
	s_waitcnt lgkmcnt(0)
	s_waitcnt_vscnt null, 0x0
	buffer_gl1_inv
	buffer_gl0_inv
	s_barrier
.LBB4_1662:
	s_or_b32 exec_lo, exec_lo, s0
.LBB4_1663:
	s_and_not1_saveexec_b32 s21, s15
	s_cbranch_execz .LBB4_1665
; %bb.1664:
	s_getpc_b64 s[0:1]
	s_add_u32 s0, s0, __PRETTY_FUNCTION__._ZN10PrimitivesI6__half10FuncMinMaxIS0_E12FanSymmetricILi1EELi0E11ProtoSimpleILi1ELi1ELi0ELi2ELi0ELi0EELi0ELb0ELi0ELi0ELi0EEC2EiiPKiS9_PKvPvmhhhP15ncclDevWorkCollP14ncclDevWorkP2pii@rel32@lo+4
	s_addc_u32 s1, s1, __PRETTY_FUNCTION__._ZN10PrimitivesI6__half10FuncMinMaxIS0_E12FanSymmetricILi1EELi0E11ProtoSimpleILi1ELi1ELi0ELi2ELi0ELi0EELi0ELb0ELi0ELi0ELi0EEC2EiiPKiS9_PKvPvmhhhP15ncclDevWorkCollP14ncclDevWorkP2pii@rel32@hi+12
	s_delay_alu instid0(SALU_CYCLE_1) | instskip(SKIP_3) | instid1(SALU_CYCLE_1)
	v_dual_mov_b32 v0, s0 :: v_dual_mov_b32 v1, s1
	s_getpc_b64 s[2:3]
	s_add_u32 s2, s2, __assert_fail@rel32@lo+4
	s_addc_u32 s3, s3, __assert_fail@rel32@hi+12
	s_swappc_b64 s[30:31], s[2:3]
	; divergent unreachable
.LBB4_1665:
	s_or_b32 exec_lo, exec_lo, s21
	scratch_load_b32 v40, off, s33          ; 4-byte Folded Reload
	v_readlane_b32 s30, v41, 0
	v_readlane_b32 s31, v41, 1
	;; [unrolled: 1-line block ×3, first 2 shown]
	s_or_saveexec_b32 s1, -1
	scratch_load_b32 v41, off, s33 offset:4 ; 4-byte Folded Reload
	s_mov_b32 exec_lo, s1
	s_add_i32 s32, s32, -16
	s_mov_b32 s33, s0
	s_waitcnt vmcnt(0) lgkmcnt(0)
	s_setpc_b64 s[30:31]
.LBB4_1666:
	s_trap 2
	s_sendmsg_rtn_b32 s0, sendmsg(MSG_RTN_GET_DOORBELL)
	s_mov_b32 ttmp2, m0
	s_waitcnt lgkmcnt(0)
	s_and_b32 s0, s0, 0x3ff
	s_delay_alu instid0(SALU_CYCLE_1) | instskip(NEXT) | instid1(SALU_CYCLE_1)
	s_bitset1_b32 s0, 10
	s_mov_b32 m0, s0
	s_sendmsg sendmsg(MSG_INTERRUPT)
	s_mov_b32 m0, ttmp2
.LBB4_1667:                             ; =>This Inner Loop Header: Depth=1
	s_sethalt 5
	s_branch .LBB4_1667
.LBB4_1668:
	s_trap 2
	s_sendmsg_rtn_b32 s0, sendmsg(MSG_RTN_GET_DOORBELL)
	s_mov_b32 ttmp2, m0
	s_waitcnt lgkmcnt(0)
	s_and_b32 s0, s0, 0x3ff
	s_delay_alu instid0(SALU_CYCLE_1) | instskip(NEXT) | instid1(SALU_CYCLE_1)
	s_bitset1_b32 s0, 10
	s_mov_b32 m0, s0
	s_sendmsg sendmsg(MSG_INTERRUPT)
	s_mov_b32 m0, ttmp2
.LBB4_1669:                             ; =>This Inner Loop Header: Depth=1
	s_sethalt 5
	s_branch .LBB4_1669
.LBB4_1670:
	s_trap 2
	s_sendmsg_rtn_b32 s0, sendmsg(MSG_RTN_GET_DOORBELL)
	s_mov_b32 ttmp2, m0
	s_waitcnt lgkmcnt(0)
	s_and_b32 s0, s0, 0x3ff
	s_delay_alu instid0(SALU_CYCLE_1) | instskip(NEXT) | instid1(SALU_CYCLE_1)
	s_bitset1_b32 s0, 10
	s_mov_b32 m0, s0
	s_sendmsg sendmsg(MSG_INTERRUPT)
	s_mov_b32 m0, ttmp2
.LBB4_1671:                             ; =>This Inner Loop Header: Depth=1
	s_sethalt 5
	s_branch .LBB4_1671
.LBB4_1672:
	s_trap 2
	s_sendmsg_rtn_b32 s0, sendmsg(MSG_RTN_GET_DOORBELL)
	s_mov_b32 ttmp2, m0
	s_waitcnt lgkmcnt(0)
	s_and_b32 s0, s0, 0x3ff
	s_delay_alu instid0(SALU_CYCLE_1) | instskip(NEXT) | instid1(SALU_CYCLE_1)
	s_bitset1_b32 s0, 10
	s_mov_b32 m0, s0
	s_sendmsg sendmsg(MSG_INTERRUPT)
	s_mov_b32 m0, ttmp2
.LBB4_1673:                             ; =>This Inner Loop Header: Depth=1
	s_sethalt 5
	s_branch .LBB4_1673
.LBB4_1674:
	s_trap 2
	s_sendmsg_rtn_b32 s0, sendmsg(MSG_RTN_GET_DOORBELL)
	s_mov_b32 ttmp2, m0
	s_waitcnt lgkmcnt(0)
	s_and_b32 s0, s0, 0x3ff
	s_delay_alu instid0(SALU_CYCLE_1) | instskip(NEXT) | instid1(SALU_CYCLE_1)
	s_bitset1_b32 s0, 10
	s_mov_b32 m0, s0
	s_sendmsg sendmsg(MSG_INTERRUPT)
	s_mov_b32 m0, ttmp2
.LBB4_1675:                             ; =>This Inner Loop Header: Depth=1
	s_sethalt 5
	s_branch .LBB4_1675
.LBB4_1676:
	s_trap 2
	s_sendmsg_rtn_b32 s0, sendmsg(MSG_RTN_GET_DOORBELL)
	s_mov_b32 ttmp2, m0
	s_waitcnt lgkmcnt(0)
	s_and_b32 s0, s0, 0x3ff
	s_delay_alu instid0(SALU_CYCLE_1) | instskip(NEXT) | instid1(SALU_CYCLE_1)
	s_bitset1_b32 s0, 10
	s_mov_b32 m0, s0
	s_sendmsg sendmsg(MSG_INTERRUPT)
	s_mov_b32 m0, ttmp2
.LBB4_1677:                             ; =>This Inner Loop Header: Depth=1
	s_sethalt 5
	s_branch .LBB4_1677
.LBB4_1678:
	s_trap 2
	s_sendmsg_rtn_b32 s0, sendmsg(MSG_RTN_GET_DOORBELL)
	s_mov_b32 ttmp2, m0
	s_waitcnt lgkmcnt(0)
	s_and_b32 s0, s0, 0x3ff
	s_delay_alu instid0(SALU_CYCLE_1) | instskip(NEXT) | instid1(SALU_CYCLE_1)
	s_bitset1_b32 s0, 10
	s_mov_b32 m0, s0
	s_sendmsg sendmsg(MSG_INTERRUPT)
	s_mov_b32 m0, ttmp2
.LBB4_1679:                             ; =>This Inner Loop Header: Depth=1
	s_sethalt 5
	s_branch .LBB4_1679
.LBB4_1680:
	s_trap 2
	s_sendmsg_rtn_b32 s0, sendmsg(MSG_RTN_GET_DOORBELL)
	s_mov_b32 ttmp2, m0
	s_waitcnt lgkmcnt(0)
	s_and_b32 s0, s0, 0x3ff
	s_delay_alu instid0(SALU_CYCLE_1) | instskip(NEXT) | instid1(SALU_CYCLE_1)
	s_bitset1_b32 s0, 10
	s_mov_b32 m0, s0
	s_sendmsg sendmsg(MSG_INTERRUPT)
	s_mov_b32 m0, ttmp2
.LBB4_1681:                             ; =>This Inner Loop Header: Depth=1
	s_sethalt 5
	s_branch .LBB4_1681
.LBB4_1682:
	s_trap 2
	s_sendmsg_rtn_b32 s0, sendmsg(MSG_RTN_GET_DOORBELL)
	s_mov_b32 ttmp2, m0
	s_waitcnt lgkmcnt(0)
	s_and_b32 s0, s0, 0x3ff
	s_delay_alu instid0(SALU_CYCLE_1) | instskip(NEXT) | instid1(SALU_CYCLE_1)
	s_bitset1_b32 s0, 10
	s_mov_b32 m0, s0
	s_sendmsg sendmsg(MSG_INTERRUPT)
	s_mov_b32 m0, ttmp2
.LBB4_1683:                             ; =>This Inner Loop Header: Depth=1
	s_sethalt 5
	s_branch .LBB4_1683
.LBB4_1684:
	s_trap 2
	s_sendmsg_rtn_b32 s0, sendmsg(MSG_RTN_GET_DOORBELL)
	s_mov_b32 ttmp2, m0
	s_waitcnt lgkmcnt(0)
	s_and_b32 s0, s0, 0x3ff
	s_delay_alu instid0(SALU_CYCLE_1) | instskip(NEXT) | instid1(SALU_CYCLE_1)
	s_bitset1_b32 s0, 10
	s_mov_b32 m0, s0
	s_sendmsg sendmsg(MSG_INTERRUPT)
	s_mov_b32 m0, ttmp2
.LBB4_1685:                             ; =>This Inner Loop Header: Depth=1
	s_sethalt 5
	s_branch .LBB4_1685
.LBB4_1686:
	s_trap 2
	s_sendmsg_rtn_b32 s0, sendmsg(MSG_RTN_GET_DOORBELL)
	s_mov_b32 ttmp2, m0
	s_waitcnt lgkmcnt(0)
	s_and_b32 s0, s0, 0x3ff
	s_delay_alu instid0(SALU_CYCLE_1) | instskip(NEXT) | instid1(SALU_CYCLE_1)
	s_bitset1_b32 s0, 10
	s_mov_b32 m0, s0
	s_sendmsg sendmsg(MSG_INTERRUPT)
	s_mov_b32 m0, ttmp2
.LBB4_1687:                             ; =>This Inner Loop Header: Depth=1
	s_sethalt 5
	s_branch .LBB4_1687
.LBB4_1688:
	s_trap 2
	s_sendmsg_rtn_b32 s0, sendmsg(MSG_RTN_GET_DOORBELL)
	s_mov_b32 ttmp2, m0
	s_waitcnt lgkmcnt(0)
	s_and_b32 s0, s0, 0x3ff
	s_delay_alu instid0(SALU_CYCLE_1) | instskip(NEXT) | instid1(SALU_CYCLE_1)
	s_bitset1_b32 s0, 10
	s_mov_b32 m0, s0
	s_sendmsg sendmsg(MSG_INTERRUPT)
	s_mov_b32 m0, ttmp2
.LBB4_1689:                             ; =>This Inner Loop Header: Depth=1
	s_sethalt 5
	s_branch .LBB4_1689
.LBB4_1690:
	s_trap 2
	s_sendmsg_rtn_b32 s0, sendmsg(MSG_RTN_GET_DOORBELL)
	s_mov_b32 ttmp2, m0
	s_waitcnt lgkmcnt(0)
	s_and_b32 s0, s0, 0x3ff
	s_delay_alu instid0(SALU_CYCLE_1) | instskip(NEXT) | instid1(SALU_CYCLE_1)
	s_bitset1_b32 s0, 10
	s_mov_b32 m0, s0
	s_sendmsg sendmsg(MSG_INTERRUPT)
	s_mov_b32 m0, ttmp2
.LBB4_1691:                             ; =>This Inner Loop Header: Depth=1
	s_sethalt 5
	s_branch .LBB4_1691
.LBB4_1692:
	s_trap 2
	s_sendmsg_rtn_b32 s0, sendmsg(MSG_RTN_GET_DOORBELL)
	s_mov_b32 ttmp2, m0
	s_waitcnt lgkmcnt(0)
	s_and_b32 s0, s0, 0x3ff
	s_delay_alu instid0(SALU_CYCLE_1) | instskip(NEXT) | instid1(SALU_CYCLE_1)
	s_bitset1_b32 s0, 10
	s_mov_b32 m0, s0
	s_sendmsg sendmsg(MSG_INTERRUPT)
	s_mov_b32 m0, ttmp2
.LBB4_1693:                             ; =>This Inner Loop Header: Depth=1
	s_sethalt 5
	s_branch .LBB4_1693
.LBB4_1694:
	s_trap 2
	s_sendmsg_rtn_b32 s0, sendmsg(MSG_RTN_GET_DOORBELL)
	s_mov_b32 ttmp2, m0
	s_waitcnt lgkmcnt(0)
	s_and_b32 s0, s0, 0x3ff
	s_delay_alu instid0(SALU_CYCLE_1) | instskip(NEXT) | instid1(SALU_CYCLE_1)
	s_bitset1_b32 s0, 10
	s_mov_b32 m0, s0
	s_sendmsg sendmsg(MSG_INTERRUPT)
	s_mov_b32 m0, ttmp2
.LBB4_1695:                             ; =>This Inner Loop Header: Depth=1
	s_sethalt 5
	s_branch .LBB4_1695
.LBB4_1696:
	s_trap 2
	s_sendmsg_rtn_b32 s0, sendmsg(MSG_RTN_GET_DOORBELL)
	s_mov_b32 ttmp2, m0
	s_waitcnt lgkmcnt(0)
	s_and_b32 s0, s0, 0x3ff
	s_delay_alu instid0(SALU_CYCLE_1) | instskip(NEXT) | instid1(SALU_CYCLE_1)
	s_bitset1_b32 s0, 10
	s_mov_b32 m0, s0
	s_sendmsg sendmsg(MSG_INTERRUPT)
	s_mov_b32 m0, ttmp2
.LBB4_1697:                             ; =>This Inner Loop Header: Depth=1
	s_sethalt 5
	s_branch .LBB4_1697
.LBB4_1698:
	s_trap 2
	s_sendmsg_rtn_b32 s0, sendmsg(MSG_RTN_GET_DOORBELL)
	s_mov_b32 ttmp2, m0
	s_waitcnt lgkmcnt(0)
	s_and_b32 s0, s0, 0x3ff
	s_delay_alu instid0(SALU_CYCLE_1) | instskip(NEXT) | instid1(SALU_CYCLE_1)
	s_bitset1_b32 s0, 10
	s_mov_b32 m0, s0
	s_sendmsg sendmsg(MSG_INTERRUPT)
	s_mov_b32 m0, ttmp2
.LBB4_1699:                             ; =>This Inner Loop Header: Depth=1
	s_sethalt 5
	s_branch .LBB4_1699
.LBB4_1700:
	s_trap 2
	s_sendmsg_rtn_b32 s0, sendmsg(MSG_RTN_GET_DOORBELL)
	s_mov_b32 ttmp2, m0
	s_waitcnt lgkmcnt(0)
	s_and_b32 s0, s0, 0x3ff
	s_delay_alu instid0(SALU_CYCLE_1) | instskip(NEXT) | instid1(SALU_CYCLE_1)
	s_bitset1_b32 s0, 10
	s_mov_b32 m0, s0
	s_sendmsg sendmsg(MSG_INTERRUPT)
	s_mov_b32 m0, ttmp2
.LBB4_1701:                             ; =>This Inner Loop Header: Depth=1
	s_sethalt 5
	s_branch .LBB4_1701
.LBB4_1702:
	s_trap 2
	s_sendmsg_rtn_b32 s0, sendmsg(MSG_RTN_GET_DOORBELL)
	s_mov_b32 ttmp2, m0
	s_waitcnt lgkmcnt(0)
	s_and_b32 s0, s0, 0x3ff
	s_delay_alu instid0(SALU_CYCLE_1) | instskip(NEXT) | instid1(SALU_CYCLE_1)
	s_bitset1_b32 s0, 10
	s_mov_b32 m0, s0
	s_sendmsg sendmsg(MSG_INTERRUPT)
	s_mov_b32 m0, ttmp2
.LBB4_1703:                             ; =>This Inner Loop Header: Depth=1
	s_sethalt 5
	s_branch .LBB4_1703
.LBB4_1704:
	s_trap 2
	s_sendmsg_rtn_b32 s0, sendmsg(MSG_RTN_GET_DOORBELL)
	s_mov_b32 ttmp2, m0
	s_waitcnt lgkmcnt(0)
	s_and_b32 s0, s0, 0x3ff
	s_delay_alu instid0(SALU_CYCLE_1) | instskip(NEXT) | instid1(SALU_CYCLE_1)
	s_bitset1_b32 s0, 10
	s_mov_b32 m0, s0
	s_sendmsg sendmsg(MSG_INTERRUPT)
	s_mov_b32 m0, ttmp2
.LBB4_1705:                             ; =>This Inner Loop Header: Depth=1
	s_sethalt 5
	s_branch .LBB4_1705
.LBB4_1706:
	s_trap 2
	s_sendmsg_rtn_b32 s0, sendmsg(MSG_RTN_GET_DOORBELL)
	s_mov_b32 ttmp2, m0
	s_waitcnt lgkmcnt(0)
	s_and_b32 s0, s0, 0x3ff
	s_delay_alu instid0(SALU_CYCLE_1) | instskip(NEXT) | instid1(SALU_CYCLE_1)
	s_bitset1_b32 s0, 10
	s_mov_b32 m0, s0
	s_sendmsg sendmsg(MSG_INTERRUPT)
	s_mov_b32 m0, ttmp2
.LBB4_1707:                             ; =>This Inner Loop Header: Depth=1
	s_sethalt 5
	s_branch .LBB4_1707
.LBB4_1708:
	s_trap 2
	s_sendmsg_rtn_b32 s0, sendmsg(MSG_RTN_GET_DOORBELL)
	s_mov_b32 ttmp2, m0
	s_waitcnt lgkmcnt(0)
	s_and_b32 s0, s0, 0x3ff
	s_delay_alu instid0(SALU_CYCLE_1) | instskip(NEXT) | instid1(SALU_CYCLE_1)
	s_bitset1_b32 s0, 10
	s_mov_b32 m0, s0
	s_sendmsg sendmsg(MSG_INTERRUPT)
	s_mov_b32 m0, ttmp2
.LBB4_1709:                             ; =>This Inner Loop Header: Depth=1
	s_sethalt 5
	s_branch .LBB4_1709
.LBB4_1710:
	s_trap 2
	s_sendmsg_rtn_b32 s0, sendmsg(MSG_RTN_GET_DOORBELL)
	s_mov_b32 ttmp2, m0
	s_waitcnt lgkmcnt(0)
	s_and_b32 s0, s0, 0x3ff
	s_delay_alu instid0(SALU_CYCLE_1) | instskip(NEXT) | instid1(SALU_CYCLE_1)
	s_bitset1_b32 s0, 10
	s_mov_b32 m0, s0
	s_sendmsg sendmsg(MSG_INTERRUPT)
	s_mov_b32 m0, ttmp2
.LBB4_1711:                             ; =>This Inner Loop Header: Depth=1
	s_sethalt 5
	s_branch .LBB4_1711
.LBB4_1712:
	s_trap 2
	s_sendmsg_rtn_b32 s0, sendmsg(MSG_RTN_GET_DOORBELL)
	s_mov_b32 ttmp2, m0
	s_waitcnt lgkmcnt(0)
	s_and_b32 s0, s0, 0x3ff
	s_delay_alu instid0(SALU_CYCLE_1) | instskip(NEXT) | instid1(SALU_CYCLE_1)
	s_bitset1_b32 s0, 10
	s_mov_b32 m0, s0
	s_sendmsg sendmsg(MSG_INTERRUPT)
	s_mov_b32 m0, ttmp2
.LBB4_1713:                             ; =>This Inner Loop Header: Depth=1
	s_sethalt 5
	s_branch .LBB4_1713
.LBB4_1714:
	s_trap 2
	s_sendmsg_rtn_b32 s0, sendmsg(MSG_RTN_GET_DOORBELL)
	s_mov_b32 ttmp2, m0
	s_waitcnt lgkmcnt(0)
	s_and_b32 s0, s0, 0x3ff
	s_delay_alu instid0(SALU_CYCLE_1) | instskip(NEXT) | instid1(SALU_CYCLE_1)
	s_bitset1_b32 s0, 10
	s_mov_b32 m0, s0
	s_sendmsg sendmsg(MSG_INTERRUPT)
	s_mov_b32 m0, ttmp2
.LBB4_1715:                             ; =>This Inner Loop Header: Depth=1
	s_sethalt 5
	s_branch .LBB4_1715
.LBB4_1716:
	s_trap 2
	s_sendmsg_rtn_b32 s0, sendmsg(MSG_RTN_GET_DOORBELL)
	s_mov_b32 ttmp2, m0
	s_waitcnt lgkmcnt(0)
	s_and_b32 s0, s0, 0x3ff
	s_delay_alu instid0(SALU_CYCLE_1) | instskip(NEXT) | instid1(SALU_CYCLE_1)
	s_bitset1_b32 s0, 10
	s_mov_b32 m0, s0
	s_sendmsg sendmsg(MSG_INTERRUPT)
	s_mov_b32 m0, ttmp2
.LBB4_1717:                             ; =>This Inner Loop Header: Depth=1
	s_sethalt 5
	s_branch .LBB4_1717
.LBB4_1718:
	s_trap 2
	s_sendmsg_rtn_b32 s0, sendmsg(MSG_RTN_GET_DOORBELL)
	s_mov_b32 ttmp2, m0
	s_waitcnt lgkmcnt(0)
	s_and_b32 s0, s0, 0x3ff
	s_delay_alu instid0(SALU_CYCLE_1) | instskip(NEXT) | instid1(SALU_CYCLE_1)
	s_bitset1_b32 s0, 10
	s_mov_b32 m0, s0
	s_sendmsg sendmsg(MSG_INTERRUPT)
	s_mov_b32 m0, ttmp2
.LBB4_1719:                             ; =>This Inner Loop Header: Depth=1
	s_sethalt 5
	s_branch .LBB4_1719
.LBB4_1720:
	s_trap 2
	s_sendmsg_rtn_b32 s0, sendmsg(MSG_RTN_GET_DOORBELL)
	s_mov_b32 ttmp2, m0
	s_waitcnt lgkmcnt(0)
	s_and_b32 s0, s0, 0x3ff
	s_delay_alu instid0(SALU_CYCLE_1) | instskip(NEXT) | instid1(SALU_CYCLE_1)
	s_bitset1_b32 s0, 10
	s_mov_b32 m0, s0
	s_sendmsg sendmsg(MSG_INTERRUPT)
	s_mov_b32 m0, ttmp2
.LBB4_1721:                             ; =>This Inner Loop Header: Depth=1
	s_sethalt 5
	s_branch .LBB4_1721
.LBB4_1722:
	s_trap 2
	s_sendmsg_rtn_b32 s0, sendmsg(MSG_RTN_GET_DOORBELL)
	s_mov_b32 ttmp2, m0
	s_waitcnt lgkmcnt(0)
	s_and_b32 s0, s0, 0x3ff
	s_delay_alu instid0(SALU_CYCLE_1) | instskip(NEXT) | instid1(SALU_CYCLE_1)
	s_bitset1_b32 s0, 10
	s_mov_b32 m0, s0
	s_sendmsg sendmsg(MSG_INTERRUPT)
	s_mov_b32 m0, ttmp2
.LBB4_1723:                             ; =>This Inner Loop Header: Depth=1
	s_sethalt 5
	s_branch .LBB4_1723
.LBB4_1724:
	s_trap 2
	s_sendmsg_rtn_b32 s0, sendmsg(MSG_RTN_GET_DOORBELL)
	s_mov_b32 ttmp2, m0
	s_waitcnt lgkmcnt(0)
	s_and_b32 s0, s0, 0x3ff
	s_delay_alu instid0(SALU_CYCLE_1) | instskip(NEXT) | instid1(SALU_CYCLE_1)
	s_bitset1_b32 s0, 10
	s_mov_b32 m0, s0
	s_sendmsg sendmsg(MSG_INTERRUPT)
	s_mov_b32 m0, ttmp2
.LBB4_1725:                             ; =>This Inner Loop Header: Depth=1
	s_sethalt 5
	s_branch .LBB4_1725
.LBB4_1726:
	s_trap 2
	s_sendmsg_rtn_b32 s0, sendmsg(MSG_RTN_GET_DOORBELL)
	s_mov_b32 ttmp2, m0
	s_waitcnt lgkmcnt(0)
	s_and_b32 s0, s0, 0x3ff
	s_delay_alu instid0(SALU_CYCLE_1) | instskip(NEXT) | instid1(SALU_CYCLE_1)
	s_bitset1_b32 s0, 10
	s_mov_b32 m0, s0
	s_sendmsg sendmsg(MSG_INTERRUPT)
	s_mov_b32 m0, ttmp2
.LBB4_1727:                             ; =>This Inner Loop Header: Depth=1
	s_sethalt 5
	s_branch .LBB4_1727
.LBB4_1728:
	s_trap 2
	s_sendmsg_rtn_b32 s0, sendmsg(MSG_RTN_GET_DOORBELL)
	s_mov_b32 ttmp2, m0
	s_waitcnt lgkmcnt(0)
	s_and_b32 s0, s0, 0x3ff
	s_delay_alu instid0(SALU_CYCLE_1) | instskip(NEXT) | instid1(SALU_CYCLE_1)
	s_bitset1_b32 s0, 10
	s_mov_b32 m0, s0
	s_sendmsg sendmsg(MSG_INTERRUPT)
	s_mov_b32 m0, ttmp2
.LBB4_1729:                             ; =>This Inner Loop Header: Depth=1
	s_sethalt 5
	s_branch .LBB4_1729
.LBB4_1730:
	s_trap 2
	s_sendmsg_rtn_b32 s0, sendmsg(MSG_RTN_GET_DOORBELL)
	s_mov_b32 ttmp2, m0
	s_waitcnt lgkmcnt(0)
	s_and_b32 s0, s0, 0x3ff
	s_delay_alu instid0(SALU_CYCLE_1) | instskip(NEXT) | instid1(SALU_CYCLE_1)
	s_bitset1_b32 s0, 10
	s_mov_b32 m0, s0
	s_sendmsg sendmsg(MSG_INTERRUPT)
	s_mov_b32 m0, ttmp2
.LBB4_1731:                             ; =>This Inner Loop Header: Depth=1
	s_sethalt 5
	s_branch .LBB4_1731
.LBB4_1732:
	s_trap 2
	s_sendmsg_rtn_b32 s0, sendmsg(MSG_RTN_GET_DOORBELL)
	s_mov_b32 ttmp2, m0
	s_waitcnt lgkmcnt(0)
	s_and_b32 s0, s0, 0x3ff
	s_delay_alu instid0(SALU_CYCLE_1) | instskip(NEXT) | instid1(SALU_CYCLE_1)
	s_bitset1_b32 s0, 10
	s_mov_b32 m0, s0
	s_sendmsg sendmsg(MSG_INTERRUPT)
	s_mov_b32 m0, ttmp2
.LBB4_1733:                             ; =>This Inner Loop Header: Depth=1
	s_sethalt 5
	s_branch .LBB4_1733
.LBB4_1734:
	s_trap 2
	s_sendmsg_rtn_b32 s0, sendmsg(MSG_RTN_GET_DOORBELL)
	s_mov_b32 ttmp2, m0
	s_waitcnt lgkmcnt(0)
	s_and_b32 s0, s0, 0x3ff
	s_delay_alu instid0(SALU_CYCLE_1) | instskip(NEXT) | instid1(SALU_CYCLE_1)
	s_bitset1_b32 s0, 10
	s_mov_b32 m0, s0
	s_sendmsg sendmsg(MSG_INTERRUPT)
	s_mov_b32 m0, ttmp2
.LBB4_1735:                             ; =>This Inner Loop Header: Depth=1
	s_sethalt 5
	s_branch .LBB4_1735
.LBB4_1736:
	s_trap 2
	s_sendmsg_rtn_b32 s0, sendmsg(MSG_RTN_GET_DOORBELL)
	s_mov_b32 ttmp2, m0
	s_waitcnt lgkmcnt(0)
	s_and_b32 s0, s0, 0x3ff
	s_delay_alu instid0(SALU_CYCLE_1) | instskip(NEXT) | instid1(SALU_CYCLE_1)
	s_bitset1_b32 s0, 10
	s_mov_b32 m0, s0
	s_sendmsg sendmsg(MSG_INTERRUPT)
	s_mov_b32 m0, ttmp2
.LBB4_1737:                             ; =>This Inner Loop Header: Depth=1
	s_sethalt 5
	s_branch .LBB4_1737
.LBB4_1738:
	s_trap 2
	s_sendmsg_rtn_b32 s0, sendmsg(MSG_RTN_GET_DOORBELL)
	s_mov_b32 ttmp2, m0
	s_waitcnt lgkmcnt(0)
	s_and_b32 s0, s0, 0x3ff
	s_delay_alu instid0(SALU_CYCLE_1) | instskip(NEXT) | instid1(SALU_CYCLE_1)
	s_bitset1_b32 s0, 10
	s_mov_b32 m0, s0
	s_sendmsg sendmsg(MSG_INTERRUPT)
	s_mov_b32 m0, ttmp2
.LBB4_1739:                             ; =>This Inner Loop Header: Depth=1
	s_sethalt 5
	s_branch .LBB4_1739
.LBB4_1740:
	s_trap 2
	s_sendmsg_rtn_b32 s0, sendmsg(MSG_RTN_GET_DOORBELL)
	s_mov_b32 ttmp2, m0
	s_waitcnt lgkmcnt(0)
	s_and_b32 s0, s0, 0x3ff
	s_delay_alu instid0(SALU_CYCLE_1) | instskip(NEXT) | instid1(SALU_CYCLE_1)
	s_bitset1_b32 s0, 10
	s_mov_b32 m0, s0
	s_sendmsg sendmsg(MSG_INTERRUPT)
	s_mov_b32 m0, ttmp2
.LBB4_1741:                             ; =>This Inner Loop Header: Depth=1
	s_sethalt 5
	s_branch .LBB4_1741
.Lfunc_end4:
	.size	_ZN12_GLOBAL__N_17runRingI6__half10FuncMinMaxIS1_E11ProtoSimpleILi1ELi1ELi0ELi2ELi0ELi0EELi0ELi2ELi0EEEviiP15ncclDevWorkColl, .Lfunc_end4-_ZN12_GLOBAL__N_17runRingI6__half10FuncMinMaxIS1_E11ProtoSimpleILi1ELi1ELi0ELi2ELi0ELi0EELi0ELi2ELi0EEEviiP15ncclDevWorkColl
                                        ; -- End function
	.section	.AMDGPU.csdata,"",@progbits
; Function info:
; codeLenInByte = 46496
; NumSgprs: 36
; NumVgprs: 130
; ScratchSize: 80
; MemoryBound: 1
	.text
	.p2align	2                               ; -- Begin function _Z47ncclDevFunc_Reduce_RING_SIMPLE_MinMax_f16_0_0_2v
	.type	_Z47ncclDevFunc_Reduce_RING_SIMPLE_MinMax_f16_0_0_2v,@function
_Z47ncclDevFunc_Reduce_RING_SIMPLE_MinMax_f16_0_0_2v: ; @_Z47ncclDevFunc_Reduce_RING_SIMPLE_MinMax_f16_0_0_2v
; %bb.0:
	s_waitcnt vmcnt(0) expcnt(0) lgkmcnt(0)
	s_mov_b32 s0, s33
	s_mov_b32 s33, s32
	s_or_saveexec_b32 s1, -1
	scratch_store_b32 off, v40, s33 offset:4 ; 4-byte Folded Spill
	s_mov_b32 exec_lo, s1
	v_writelane_b32 v40, s0, 8
	s_add_i32 s32, s32, 16
	scratch_store_b32 off, v41, s33         ; 4-byte Folded Spill
	v_writelane_b32 v40, s34, 0
	v_writelane_b32 v40, s35, 1
	;; [unrolled: 1-line block ×8, first 2 shown]
	s_cbranch_execnz .LBB5_7
; %bb.1:
	ds_load_b32 v0, v0
	v_and_b32_e32 v130, 0x3ff, v31
	s_mov_b32 s0, exec_lo
	s_waitcnt lgkmcnt(0)
	s_delay_alu instid0(VALU_DEP_1)
	v_cmpx_lt_i32_e64 v130, v0
	s_cbranch_execz .LBB5_9
; %bb.2:
	s_load_b32 s1, s[8:9], 0x0
	v_mov_b32_e32 v1, 0
	s_waitcnt lgkmcnt(0)
	s_cmp_lt_u32 s12, s1
	s_cselect_b32 s1, 12, 18
	s_delay_alu instid0(SALU_CYCLE_1)
	s_add_u32 s2, s8, s1
	s_addc_u32 s3, s9, 0
	s_mov_b32 s1, 0
	global_load_u16 v1, v1, s[2:3]
	s_cbranch_execnz .LBB5_24
; %bb.3:
	ds_load_b32 v2, v0
	v_mov_b32_e32 v3, v130
	s_mov_b32 s2, 0
                                        ; implicit-def: $vgpr4
	s_waitcnt vmcnt(0) lgkmcnt(0)
	v_mul_lo_u32 v2, v2, v1
	s_branch .LBB5_5
	.p2align	6
.LBB5_4:                                ;   in Loop: Header=BB5_5 Depth=1
	s_or_b32 exec_lo, exec_lo, s3
	v_add_nc_u32_e32 v3, v3, v1
	v_add_nc_u32_e32 v4, v4, v2
	s_delay_alu instid0(VALU_DEP_2) | instskip(SKIP_1) | instid1(SALU_CYCLE_1)
	v_cmp_ge_i32_e32 vcc_lo, v3, v0
	s_or_b32 s1, vcc_lo, s1
	s_and_not1_b32 exec_lo, exec_lo, s1
	s_cbranch_execz .LBB5_9
.LBB5_5:                                ; =>This Inner Loop Header: Depth=1
	ds_load_b32 v5, v4
	s_mov_b32 s3, exec_lo
	s_waitcnt lgkmcnt(0)
	v_and_b32_e32 v5, 0x1000000, v5
	s_delay_alu instid0(VALU_DEP_1)
	v_cmpx_ne_u32_e32 0, v5
	s_cbranch_execz .LBB5_4
; %bb.6:                                ;   in Loop: Header=BB5_5 Depth=1
	ds_load_b64 v[5:6], v4 offset:104
	s_waitcnt lgkmcnt(0)
	flat_load_u16 v5, v[5:6]
	s_waitcnt vmcnt(0) lgkmcnt(0)
	v_dual_mov_b32 v6, s2 :: v_dual_and_b32 v5, 0xffff, v5
	ds_store_b64 v4, v[5:6] offset:104
	s_branch .LBB5_4
.LBB5_7:
	s_trap 2
	s_sendmsg_rtn_b32 s0, sendmsg(MSG_RTN_GET_DOORBELL)
	s_mov_b32 ttmp2, m0
	s_waitcnt lgkmcnt(0)
	s_and_b32 s0, s0, 0x3ff
	s_delay_alu instid0(SALU_CYCLE_1) | instskip(NEXT) | instid1(SALU_CYCLE_1)
	s_bitset1_b32 s0, 10
	s_mov_b32 m0, s0
	s_sendmsg sendmsg(MSG_INTERRUPT)
	s_mov_b32 m0, ttmp2
.LBB5_8:                                ; =>This Inner Loop Header: Depth=1
	s_sethalt 5
	s_branch .LBB5_8
.LBB5_9:
	s_or_b32 exec_lo, exec_lo, s0
	s_waitcnt lgkmcnt(0)
	s_waitcnt_vscnt null, 0x0
	s_barrier
	buffer_gl0_inv
	s_cbranch_execnz .LBB5_22
; %bb.10:
	ds_load_b32 v0, v0
	s_waitcnt lgkmcnt(0)
	v_cmp_gt_i32_e32 vcc_lo, 1, v0
	s_cbranch_vccnz .LBB5_21
; %bb.11:
	s_mov_b32 s38, 0
	s_mov_b64 s[36:37], src_shared_base
.LBB5_12:                               ; =>This Inner Loop Header: Depth=1
	s_cbranch_execnz .LBB5_26
; %bb.13:                               ;   in Loop: Header=BB5_12 Depth=1
	ds_load_b32 v0, v0
	s_cmp_eq_u32 s38, 0
	s_cbranch_scc1 .LBB5_17
; %bb.14:                               ;   in Loop: Header=BB5_12 Depth=1
	s_cbranch_execnz .LBB5_30
; %bb.15:                               ;   in Loop: Header=BB5_12 Depth=1
	s_waitcnt lgkmcnt(0)
	ds_load_b32 v1, v0
	s_waitcnt lgkmcnt(0)
	v_xor_b32_e32 v1, v1, v0
	s_delay_alu instid0(VALU_DEP_1) | instskip(NEXT) | instid1(VALU_DEP_1)
	v_and_b32_e32 v1, 0xff0000, v1
	v_cmp_eq_u32_e32 vcc_lo, 0, v1
	s_cbranch_vccnz .LBB5_17
; %bb.16:                               ;   in Loop: Header=BB5_12 Depth=1
	s_waitcnt_vscnt null, 0x0
	s_barrier
	buffer_gl0_inv
	ds_load_b32 v0, v0
.LBB5_17:                               ;   in Loop: Header=BB5_12 Depth=1
	s_waitcnt lgkmcnt(0)
	v_lshrrev_b32_e32 v0, 11, v0
	s_mov_b32 s39, exec_lo
	s_delay_alu instid0(VALU_DEP_1) | instskip(NEXT) | instid1(VALU_DEP_1)
	v_and_b32_e32 v1, 0x1fe0, v0
	v_cmpx_lt_u32_e64 v130, v1
	s_cbranch_execz .LBB5_19
; %bb.18:                               ;   in Loop: Header=BB5_12 Depth=1
	v_dual_mov_b32 v131, v31 :: v_dual_mov_b32 v0, v130
	v_mov_b32_e32 v3, s37
	s_getpc_b64 s[0:1]
	s_add_u32 s0, s0, _ZN12_GLOBAL__N_17runRingI6__half10FuncMinMaxIS1_E11ProtoSimpleILi1ELi1ELi0ELi2ELi0ELi0EELi0ELi2ELi0EEEviiP15ncclDevWorkColl@rel32@lo+4
	s_addc_u32 s1, s1, _ZN12_GLOBAL__N_17runRingI6__half10FuncMinMaxIS1_E11ProtoSimpleILi1ELi1ELi0ELi2ELi0ELi0EELi0ELi2ELi0EEEviiP15ncclDevWorkColl@rel32@hi+12
	s_mov_b64 s[34:35], s[8:9]
	s_mov_b32 s36, s12
	s_swappc_b64 s[30:31], s[0:1]
	v_mov_b32_e32 v31, v131
	s_mov_b32 s12, s36
	s_mov_b64 s[8:9], s[34:35]
.LBB5_19:                               ;   in Loop: Header=BB5_12 Depth=1
	s_or_b32 exec_lo, exec_lo, s39
	s_cbranch_execnz .LBB5_28
; %bb.20:                               ;   in Loop: Header=BB5_12 Depth=1
	ds_load_b32 v0, v0
	s_add_i32 s38, s38, 1
	s_waitcnt lgkmcnt(0)
	v_cmp_lt_i32_e32 vcc_lo, s38, v0
	s_cbranch_vccnz .LBB5_12
.LBB5_21:
	scratch_load_b32 v41, off, s33          ; 4-byte Folded Reload
	v_readlane_b32 s30, v40, 6
	v_readlane_b32 s31, v40, 7
	v_readlane_b32 s39, v40, 5
	v_readlane_b32 s38, v40, 4
	v_readlane_b32 s37, v40, 3
	v_readlane_b32 s36, v40, 2
	v_readlane_b32 s35, v40, 1
	v_readlane_b32 s34, v40, 0
	v_readlane_b32 s0, v40, 8
	s_or_saveexec_b32 s1, -1
	scratch_load_b32 v40, off, s33 offset:4 ; 4-byte Folded Reload
	s_mov_b32 exec_lo, s1
	s_add_i32 s32, s32, -16
	s_mov_b32 s33, s0
	s_waitcnt vmcnt(0)
	s_setpc_b64 s[30:31]
.LBB5_22:
	s_trap 2
	s_sendmsg_rtn_b32 s0, sendmsg(MSG_RTN_GET_DOORBELL)
	s_mov_b32 ttmp2, m0
	s_waitcnt lgkmcnt(0)
	s_and_b32 s0, s0, 0x3ff
	s_delay_alu instid0(SALU_CYCLE_1) | instskip(NEXT) | instid1(SALU_CYCLE_1)
	s_bitset1_b32 s0, 10
	s_mov_b32 m0, s0
	s_sendmsg sendmsg(MSG_INTERRUPT)
	s_mov_b32 m0, ttmp2
.LBB5_23:                               ; =>This Inner Loop Header: Depth=1
	s_sethalt 5
	s_branch .LBB5_23
.LBB5_24:
	s_trap 2
	s_sendmsg_rtn_b32 s0, sendmsg(MSG_RTN_GET_DOORBELL)
	s_mov_b32 ttmp2, m0
	s_waitcnt lgkmcnt(0)
	s_and_b32 s0, s0, 0x3ff
	s_delay_alu instid0(SALU_CYCLE_1) | instskip(NEXT) | instid1(SALU_CYCLE_1)
	s_bitset1_b32 s0, 10
	s_mov_b32 m0, s0
	s_sendmsg sendmsg(MSG_INTERRUPT)
	s_mov_b32 m0, ttmp2
.LBB5_25:                               ; =>This Inner Loop Header: Depth=1
	s_sethalt 5
	s_branch .LBB5_25
.LBB5_26:
	s_trap 2
	s_sendmsg_rtn_b32 s0, sendmsg(MSG_RTN_GET_DOORBELL)
	s_mov_b32 ttmp2, m0
	s_waitcnt lgkmcnt(0)
	s_and_b32 s0, s0, 0x3ff
	s_delay_alu instid0(SALU_CYCLE_1) | instskip(NEXT) | instid1(SALU_CYCLE_1)
	s_bitset1_b32 s0, 10
	s_mov_b32 m0, s0
	s_sendmsg sendmsg(MSG_INTERRUPT)
	s_mov_b32 m0, ttmp2
.LBB5_27:                               ; =>This Inner Loop Header: Depth=1
	s_sethalt 5
	s_branch .LBB5_27
.LBB5_28:
	s_trap 2
	s_sendmsg_rtn_b32 s0, sendmsg(MSG_RTN_GET_DOORBELL)
	s_mov_b32 ttmp2, m0
	s_waitcnt lgkmcnt(0)
	s_and_b32 s0, s0, 0x3ff
	s_delay_alu instid0(SALU_CYCLE_1) | instskip(NEXT) | instid1(SALU_CYCLE_1)
	s_bitset1_b32 s0, 10
	s_mov_b32 m0, s0
	s_sendmsg sendmsg(MSG_INTERRUPT)
	s_mov_b32 m0, ttmp2
.LBB5_29:                               ; =>This Inner Loop Header: Depth=1
	s_sethalt 5
	s_branch .LBB5_29
.LBB5_30:
	s_trap 2
	s_sendmsg_rtn_b32 s0, sendmsg(MSG_RTN_GET_DOORBELL)
	s_mov_b32 ttmp2, m0
	s_waitcnt lgkmcnt(0)
	s_and_b32 s0, s0, 0x3ff
	s_delay_alu instid0(SALU_CYCLE_1) | instskip(NEXT) | instid1(SALU_CYCLE_1)
	s_bitset1_b32 s0, 10
	s_mov_b32 m0, s0
	s_sendmsg sendmsg(MSG_INTERRUPT)
	s_mov_b32 m0, ttmp2
.LBB5_31:                               ; =>This Inner Loop Header: Depth=1
	s_sethalt 5
	s_branch .LBB5_31
.Lfunc_end5:
	.size	_Z47ncclDevFunc_Reduce_RING_SIMPLE_MinMax_f16_0_0_2v, .Lfunc_end5-_Z47ncclDevFunc_Reduce_RING_SIMPLE_MinMax_f16_0_0_2v
                                        ; -- End function
	.section	.AMDGPU.csdata,"",@progbits
; Function info:
; codeLenInByte = 1048
; NumSgprs: 42
; NumVgprs: 132
; ScratchSize: 96
; MemoryBound: 0
	.text
	.p2align	2                               ; -- Begin function _ZN12_GLOBAL__N_17runRingI6__half10FuncMinMaxIS1_E11ProtoSimpleILi1ELi1ELi0ELi4ELi0ELi0EELi0ELi4ELi0EEEviiP15ncclDevWorkColl
	.type	_ZN12_GLOBAL__N_17runRingI6__half10FuncMinMaxIS1_E11ProtoSimpleILi1ELi1ELi0ELi4ELi0ELi0EELi0ELi4ELi0EEEviiP15ncclDevWorkColl,@function
_ZN12_GLOBAL__N_17runRingI6__half10FuncMinMaxIS1_E11ProtoSimpleILi1ELi1ELi0ELi4ELi0ELi0EELi0ELi4ELi0EEEviiP15ncclDevWorkColl: ; @_ZN12_GLOBAL__N_17runRingI6__half10FuncMinMaxIS1_E11ProtoSimpleILi1ELi1ELi0ELi4ELi0ELi0EELi0ELi4ELi0EEEviiP15ncclDevWorkColl
; %bb.0:
	s_waitcnt vmcnt(0) expcnt(0) lgkmcnt(0)
	s_mov_b32 s0, s33
	s_mov_b32 s33, s32
	s_or_saveexec_b32 s1, -1
	scratch_store_b32 off, v41, s33 offset:4 ; 4-byte Folded Spill
	s_mov_b32 exec_lo, s1
	v_writelane_b32 v41, s0, 2
	s_add_i32 s32, s32, 16
	scratch_store_b32 off, v40, s33         ; 4-byte Folded Spill
	v_writelane_b32 v41, s30, 0
	v_writelane_b32 v41, s31, 1
	s_cbranch_execnz .LBB6_2028
; %bb.1:
	ds_load_b64 v[14:15], v0
	ds_load_b32 v9, v0
	flat_load_b64 v[6:7], v[2:3]
	s_mov_b32 s0, exec_lo
                                        ; implicit-def: $vgpr17_vgpr18
                                        ; implicit-def: $vgpr82_vgpr83
	s_waitcnt lgkmcnt(2)
	v_ashrrev_i32_e32 v5, 31, v15
	v_mov_b32_e32 v4, v15
	s_delay_alu instid0(VALU_DEP_1) | instskip(NEXT) | instid1(VALU_DEP_1)
	v_lshlrev_b64 v[4:5], 2, v[4:5]
	v_add_co_u32 v4, vcc_lo, v14, v4
	s_delay_alu instid0(VALU_DEP_2) | instskip(NEXT) | instid1(VALU_DEP_2)
	v_add_co_ci_u32_e32 v5, vcc_lo, v15, v5, vcc_lo
	v_add_co_u32 v4, vcc_lo, -4, v4
	s_delay_alu instid0(VALU_DEP_2) | instskip(SKIP_4) | instid1(VALU_DEP_1)
	v_add_co_ci_u32_e32 v5, vcc_lo, -1, v5, vcc_lo
	flat_load_u16 v16, v[2:3] offset:8
	flat_load_b32 v23, v[4:5]
                                        ; implicit-def: $vgpr4_vgpr5
	s_waitcnt vmcnt(2) lgkmcnt(2)
	v_dual_mov_b32 v15, v7 :: v_dual_and_b32 v8, 0xff, v6
	v_cmpx_ne_u32_e64 v8, v9
	s_xor_b32 s0, exec_lo, s0
	s_cbranch_execnz .LBB6_2030
; %bb.2:
	s_and_not1_saveexec_b32 s0, s0
	s_cbranch_execnz .LBB6_2035
.LBB6_3:
	s_or_b32 exec_lo, exec_lo, s0
	s_cbranch_execnz .LBB6_2036
.LBB6_4:
	ds_load_b64 v[6:7], v0
	s_mov_b32 s1, exec_lo
	s_waitcnt lgkmcnt(0)
	v_cmp_ne_u32_e32 vcc_lo, -1, v6
	v_cndmask_b32_e64 v22, 0, 1, vcc_lo
	v_cmp_ne_u32_e32 vcc_lo, -1, v7
	s_delay_alu instid0(VALU_DEP_2) | instskip(NEXT) | instid1(VALU_DEP_1)
	v_add_co_ci_u32_e64 v6, s0, 0, v22, vcc_lo
	v_lshlrev_b32_e32 v7, 1, v6
	s_delay_alu instid0(VALU_DEP_1)
	v_cmpx_le_i32_e64 v7, v1
	s_xor_b32 s15, exec_lo, s1
	s_cbranch_execz .LBB6_2239
; %bb.5:
	s_clause 0x1
	flat_load_b128 v[10:13], v[2:3] offset:16
	flat_load_b64 v[18:19], v[2:3] offset:104
	s_cbranch_execnz .LBB6_2038
; %bb.6:
	s_load_b32 s0, s[8:9], 0x0
	v_mov_b32_e32 v2, 0
	v_mov_b32_e32 v102, 4
	s_mov_b32 s2, exec_lo
	s_waitcnt lgkmcnt(0)
	s_cmp_lt_u32 s12, s0
	s_cselect_b32 s0, 12, 18
	s_delay_alu instid0(SALU_CYCLE_1)
	s_add_u32 s0, s8, s0
	s_addc_u32 s1, s9, 0
	global_load_u16 v24, v2, s[0:1]
	ds_load_b32 v2, v0
	s_waitcnt lgkmcnt(0)
	v_readfirstlane_b32 s1, v2
	v_cmpx_ge_i32_e64 v0, v22
	s_cbranch_execz .LBB6_16
; %bb.7:
	v_cmp_le_u32_e64 s0, v6, v0
                                        ; implicit-def: $vgpr102
	s_delay_alu instid0(VALU_DEP_1) | instskip(NEXT) | instid1(SALU_CYCLE_1)
	s_and_saveexec_b32 s3, s0
	s_xor_b32 s0, exec_lo, s3
	s_cbranch_execz .LBB6_13
; %bb.8:
	v_cndmask_b32_e64 v2, 0, 1, vcc_lo
	s_mov_b32 s3, exec_lo
                                        ; implicit-def: $sgpr4
	s_delay_alu instid0(VALU_DEP_1) | instskip(NEXT) | instid1(VALU_DEP_1)
	v_sub_nc_u32_e32 v2, v1, v2
	v_cmpx_ge_u32_e64 v0, v2
	s_xor_b32 s3, exec_lo, s3
; %bb.9:
	s_mov_b32 s4, 16
                                        ; implicit-def: $vgpr6
; %bb.10:
	s_or_saveexec_b32 s3, s3
	v_mov_b32_e32 v102, s4
	s_xor_b32 exec_lo, exec_lo, s3
; %bb.11:
	v_sub_nc_u32_e32 v2, v1, v6
	s_delay_alu instid0(VALU_DEP_1) | instskip(SKIP_1) | instid1(VALU_DEP_1)
	v_cmp_ge_i32_e32 vcc_lo, v0, v2
	v_cndmask_b32_e64 v2, 0, 1, vcc_lo
	v_lshlrev_b32_e32 v102, 5, v2
; %bb.12:
	s_or_b32 exec_lo, exec_lo, s3
.LBB6_13:
	s_and_not1_saveexec_b32 s0, s0
; %bb.14:
	v_mov_b32_e32 v102, 8
; %bb.15:
	s_or_b32 exec_lo, exec_lo, s0
.LBB6_16:
	s_delay_alu instid0(SALU_CYCLE_1) | instskip(NEXT) | instid1(VALU_DEP_1)
	s_or_b32 exec_lo, exec_lo, s2
	v_and_b32_e32 v2, 36, v102
	v_mov_b32_e32 v20, -1
	s_delay_alu instid0(VALU_DEP_2)
	v_cmp_ne_u32_e32 vcc_lo, 0, v2
	s_and_saveexec_b32 s0, vcc_lo
	s_cbranch_execz .LBB6_19
; %bb.17:
	s_cbranch_execnz .LBB6_2040
; %bb.18:
	ds_load_b32 v20, v0
.LBB6_19:
	s_or_b32 exec_lo, exec_lo, s0
	v_and_b32_e32 v2, 24, v102
	s_mov_b32 s2, exec_lo
	s_delay_alu instid0(VALU_DEP_1)
	v_cmpx_ne_u32_e32 0, v2
	s_cbranch_execz .LBB6_22
; %bb.20:
	s_cbranch_execnz .LBB6_2042
; %bb.21:
	s_waitcnt lgkmcnt(0)
	ds_load_b32 v20, v0
.LBB6_22:
	s_or_b32 exec_lo, exec_lo, s2
	s_waitcnt vmcnt(4)
	v_lshrrev_b64 v[2:3], 31, v[15:16]
	v_mov_b32_e32 v52, 0
	v_mov_b32_e32 v53, 0
                                        ; implicit-def: $vgpr112
                                        ; implicit-def: $vgpr66_vgpr67
                                        ; implicit-def: $vgpr64_vgpr65
                                        ; implicit-def: $vgpr54_vgpr55
	s_delay_alu instid0(VALU_DEP_3) | instskip(NEXT) | instid1(VALU_DEP_2)
	v_and_b32_e32 v16, 3, v2
	v_dual_mov_b32 v6, v52 :: v_dual_mov_b32 v7, v53
                                        ; implicit-def: $vgpr2_vgpr3
	s_and_saveexec_b32 s0, vcc_lo
	s_cbranch_execz .LBB6_35
; %bb.23:
	s_cbranch_execnz .LBB6_2044
; %bb.24:
	ds_load_b64 v[2:3], v0
	s_waitcnt lgkmcnt(1)
	v_ashrrev_i32_e32 v21, 31, v20
	v_and_b32_e32 v8, 0xffff, v16
	s_delay_alu instid0(VALU_DEP_2) | instskip(SKIP_1) | instid1(VALU_DEP_1)
	v_lshlrev_b64 v[6:7], 3, v[20:21]
	s_waitcnt lgkmcnt(0)
	v_add_co_u32 v2, vcc_lo, v2, v6
	s_delay_alu instid0(VALU_DEP_2)
	v_add_co_ci_u32_e32 v3, vcc_lo, v3, v7, vcc_lo
	flat_load_b64 v[2:3], v[2:3]
	s_waitcnt vmcnt(0) lgkmcnt(0)
	v_mad_u64_u32 v[6:7], null, 0xa8, v8, v[2:3]
	flat_load_b32 v2, v[6:7] offset:640
	v_add_co_u32 v52, vcc_lo, 0x1f8, v6
	v_add_co_ci_u32_e32 v53, vcc_lo, 0, v7, vcc_lo
	s_waitcnt vmcnt(0) lgkmcnt(0)
	v_cmp_eq_u32_e32 vcc_lo, 1, v2
                                        ; implicit-def: $vgpr2_vgpr3
	s_and_saveexec_b32 s2, vcc_lo
	s_cbranch_execz .LBB6_27
; %bb.25:
	flat_load_b64 v[2:3], v[52:53] offset:144
	s_waitcnt vmcnt(0) lgkmcnt(0)
	flat_load_b64 v[6:7], v[2:3]
	s_cbranch_execnz .LBB6_2050
; %bb.26:
	s_waitcnt vmcnt(0) lgkmcnt(0)
	ds_store_b64 v0, v[6:7]
	flat_load_b64 v[6:7], v[2:3] offset:8
	v_or_b32_e32 v102, 0x2000, v102
	s_waitcnt vmcnt(0) lgkmcnt(0)
	ds_store_b64 v0, v[6:7]
	flat_load_b64 v[6:7], v[2:3] offset:16
	s_waitcnt vmcnt(0) lgkmcnt(0)
	ds_store_b64 v0, v[6:7]
.LBB6_27:
	s_or_b32 exec_lo, exec_lo, s2
	flat_load_b64 v[8:9], v[52:53] offset:104
	v_and_b32_e32 v6, 32, v102
	s_mov_b32 s2, exec_lo
                                        ; implicit-def: $vgpr54_vgpr55
	s_delay_alu instid0(VALU_DEP_1)
	v_cmpx_ne_u32_e32 0, v6
	s_cbranch_execz .LBB6_29
; %bb.28:
	flat_load_b64 v[54:55], v[52:53] offset:56
	s_waitcnt vmcnt(0) lgkmcnt(0)
	s_waitcnt_vscnt null, 0x0
	flat_store_b64 v[54:55], v[8:9]
.LBB6_29:
	s_or_b32 exec_lo, exec_lo, s2
	v_dual_mov_b32 v6, 0 :: v_dual_and_b32 v21, 4, v102
	v_mov_b32_e32 v7, 0
	s_mov_b32 s2, exec_lo
                                        ; implicit-def: $vgpr112
                                        ; implicit-def: $vgpr66_vgpr67
                                        ; implicit-def: $vgpr64_vgpr65
	s_delay_alu instid0(VALU_DEP_2)
	v_cmpx_ne_u32_e32 0, v21
	s_cbranch_execz .LBB6_34
; %bb.30:
	v_and_b32_e32 v6, 0x800, v102
	s_mov_b32 s3, exec_lo
	s_delay_alu instid0(VALU_DEP_1)
	v_cmpx_eq_u32_e32 0, v6
	s_cbranch_execz .LBB6_33
; %bb.31:
	s_cbranch_execnz .LBB6_2054
; %bb.32:
	ds_store_b64 v0, v[52:53]
.LBB6_33:
	s_or_b32 exec_lo, exec_lo, s3
	flat_load_b64 v[54:55], v[52:53] offset:48
	v_or_b32_e32 v25, 0x100, v102
	s_waitcnt vmcnt(0) lgkmcnt(0)
	flat_load_b64 v[66:67], v[54:55] glc
	s_clause 0x2
	flat_load_b32 v21, v[52:53] offset:72
	flat_load_b64 v[6:7], v[52:53] offset:96
	flat_load_b64 v[64:65], v[52:53] offset:16
	s_waitcnt vmcnt(2) lgkmcnt(2)
	v_ashrrev_i32_e32 v112, 1, v21
	s_waitcnt vmcnt(1) lgkmcnt(1)
	v_cmp_eq_u64_e32 vcc_lo, 0, v[6:7]
	v_cndmask_b32_e32 v102, v25, v102, vcc_lo
.LBB6_34:
	s_or_b32 exec_lo, exec_lo, s2
.LBB6_35:
	s_delay_alu instid0(SALU_CYCLE_1) | instskip(NEXT) | instid1(VALU_DEP_1)
	s_or_b32 exec_lo, exec_lo, s0
	v_and_b32_e32 v21, 24, v102
	s_mov_b32 s0, exec_lo
                                        ; implicit-def: $vgpr80_vgpr81
	s_delay_alu instid0(VALU_DEP_1)
	v_cmpx_ne_u32_e32 0, v21
	s_cbranch_execz .LBB6_45
; %bb.36:
	s_cbranch_execnz .LBB6_2046
; %bb.37:
	ds_load_b64 v[6:7], v0
	s_waitcnt lgkmcnt(1)
	v_ashrrev_i32_e32 v21, 31, v20
	s_mov_b32 s2, exec_lo
                                        ; implicit-def: $vgpr80_vgpr81
	s_waitcnt vmcnt(0)
	s_delay_alu instid0(VALU_DEP_1) | instskip(SKIP_1) | instid1(VALU_DEP_1)
	v_lshlrev_b64 v[8:9], 3, v[20:21]
	s_waitcnt lgkmcnt(0)
	v_add_co_u32 v6, vcc_lo, v6, v8
	s_delay_alu instid0(VALU_DEP_2)
	v_add_co_ci_u32_e32 v7, vcc_lo, v7, v9, vcc_lo
	v_and_b32_e32 v8, 0xffff, v16
	v_or_b32_e32 v16, 0x100, v102
	flat_load_b64 v[6:7], v[6:7]
	s_waitcnt vmcnt(0) lgkmcnt(0)
	v_mad_u64_u32 v[52:53], null, 0xa8, v8, v[6:7]
	flat_load_b128 v[6:9], v[52:53] offset:96
	s_waitcnt vmcnt(0) lgkmcnt(0)
	v_cmp_eq_u64_e32 vcc_lo, 0, v[6:7]
	v_cndmask_b32_e32 v102, v16, v102, vcc_lo
	s_delay_alu instid0(VALU_DEP_1) | instskip(NEXT) | instid1(VALU_DEP_1)
	v_and_b32_e32 v16, 16, v102
	v_cmpx_ne_u32_e32 0, v16
; %bb.38:
	s_clause 0x2
	flat_load_b64 v[80:81], v[52:53] offset:120
	flat_load_b64 v[54:55], v[52:53] offset:48
	;; [unrolled: 1-line block ×3, first 2 shown]
; %bb.39:
	s_or_b32 exec_lo, exec_lo, s2
	v_and_b32_e32 v16, 8, v102
	s_mov_b32 s2, exec_lo
	s_delay_alu instid0(VALU_DEP_1)
	v_cmpx_ne_u32_e32 0, v16
	s_cbranch_execz .LBB6_44
; %bb.40:
	v_and_b32_e32 v16, 0x800, v102
	s_mov_b32 s3, exec_lo
	s_delay_alu instid0(VALU_DEP_1)
	v_cmpx_eq_u32_e32 0, v16
	s_cbranch_execz .LBB6_43
; %bb.41:
	s_cbranch_execnz .LBB6_2071
; %bb.42:
	ds_store_b64 v0, v[52:53]
.LBB6_43:
	s_or_b32 exec_lo, exec_lo, s3
	s_waitcnt vmcnt(1) lgkmcnt(1)
	flat_load_b64 v[54:55], v[52:53] offset:56
	s_waitcnt vmcnt(0) lgkmcnt(0)
	flat_load_b64 v[66:67], v[54:55] glc
	s_clause 0x1
	flat_load_b32 v16, v[52:53] offset:72
	flat_load_b64 v[64:65], v[52:53] offset:16
	s_waitcnt vmcnt(1) lgkmcnt(1)
	v_ashrrev_i32_e32 v112, 1, v16
.LBB6_44:
	s_or_b32 exec_lo, exec_lo, s2
.LBB6_45:
	s_delay_alu instid0(SALU_CYCLE_1) | instskip(SKIP_1) | instid1(VALU_DEP_1)
	s_or_b32 exec_lo, exec_lo, s0
	v_cmp_eq_u32_e64 s0, 0, v0
	s_and_saveexec_b32 s2, s0
	s_cbranch_execz .LBB6_48
; %bb.46:
	s_waitcnt vmcnt(2)
	ds_store_2addr_b64 v0, v[12:13], v[10:11] offset1:1
	s_cbranch_execnz .LBB6_2048
; %bb.47:
	v_mov_b32_e32 v10, 0
	s_delay_alu instid0(VALU_DEP_1)
	v_mov_b32_e32 v11, v10
	ds_store_b64 v0, v[10:11]
	s_waitcnt vmcnt(1)
	ds_store_b64 v0, v[18:19]
.LBB6_48:
	s_or_b32 exec_lo, exec_lo, s2
	s_ashr_i32 s2, s1, 31
	v_dual_mov_b32 v71, 0 :: v_dual_and_b32 v70, 0x1fffff00, v17
	s_lshr_b32 s2, s2, 29
	s_waitcnt vmcnt(2)
	v_bfe_u32 v10, v15, 1, 30
	s_waitcnt vmcnt(0)
	v_and_b32_e32 v103, 0xffff, v24
	s_add_i32 s1, s1, s2
                                        ; implicit-def: $vgpr68_vgpr69
	s_delay_alu instid0(SALU_CYCLE_1)
	s_ashr_i32 s16, s1, 4
	s_mov_b32 s1, exec_lo
	v_cmpx_ne_u32_e64 v23, v10
	s_xor_b32 s17, exec_lo, s1
	s_cbranch_execz .LBB6_1822
; %bb.49:
	v_cmp_ne_u64_e64 s1, 0, v[4:5]
                                        ; implicit-def: $vgpr68_vgpr69
	s_mov_b32 s2, exec_lo
	v_cmpx_ne_u32_e64 v14, v10
	s_xor_b32 s18, exec_lo, s2
	s_cbranch_execz .LBB6_941
; %bb.50:
	v_mov_b32_e32 v68, 0
	v_mov_b32_e32 v69, 0
	s_and_saveexec_b32 s19, s1
	s_cbranch_execz .LBB6_940
; %bb.51:
	v_cmp_ge_i32_e64 s2, v0, v1
	s_cbranch_execnz .LBB6_2069
; %bb.52:
	v_ashrrev_i32_e32 v10, 31, v0
	v_lshrrev_b32_e32 v114, 5, v1
	v_dual_mov_b32 v84, 0 :: v_dual_and_b32 v11, 31, v31
	v_mov_b32_e32 v30, 0
	s_delay_alu instid0(VALU_DEP_4)
	v_lshrrev_b32_e32 v10, 27, v10
	s_lshr_b32 s5, s16, 27
	v_lshlrev_b32_e32 v130, 6, v114
	s_add_i32 s11, s16, s5
	v_cmp_eq_u32_e64 s5, 0, v11
	v_dual_mov_b32 v85, 0 :: v_dual_add_nc_u32 v10, v0, v10
	v_lshlrev_b32_e32 v116, 9, v114
	v_mov_b32_e32 v68, v84
	v_lshl_add_u32 v11, v114, 10, 0xfffffc00
	s_delay_alu instid0(VALU_DEP_4) | instskip(SKIP_3) | instid1(VALU_DEP_4)
	v_dual_mov_b32 v145, 1 :: v_dual_and_b32 v12, 0xffffffe0, v10
	v_ashrrev_i32_e32 v115, 5, v10
	v_lshl_add_u32 v10, v114, 11, 0xfffff800
	v_dual_mov_b32 v69, v85 :: v_dual_add_nc_u32 v14, 0xfffffe00, v116
	v_sub_nc_u32_e32 v117, v0, v12
	s_delay_alu instid0(VALU_DEP_4) | instskip(NEXT) | instid1(VALU_DEP_4)
	v_lshlrev_b32_e32 v12, 11, v115
	v_ashrrev_i32_e32 v13, 31, v10
	v_add_co_u32 v119, s6, 0x800, v10
	v_ashrrev_i32_e32 v10, 31, v14
	v_add_co_u32 v131, s10, 0x200, v14
	v_lshl_add_u32 v118, v117, 4, v12
	v_subrev_nc_u32_e32 v12, 64, v130
	s_delay_alu instid0(VALU_DEP_4) | instskip(SKIP_4) | instid1(VALU_DEP_4)
	v_add_co_ci_u32_e64 v132, s10, 0, v10, s10
	v_ashrrev_i32_e32 v10, 31, v11
	v_add_co_u32 v133, s10, 0x400, v11
	v_cmp_eq_u32_e32 vcc_lo, 32, v1
	v_add_co_ci_u32_e64 v128, s6, 0, v13, s6
	v_add_co_ci_u32_e64 v134, s10, 0, v10, s10
	v_ashrrev_i32_e32 v10, 31, v12
	v_add_co_u32 v135, s10, v12, 64
	v_lshlrev_b64 v[82:83], 1, v[82:83]
	v_ashrrev_i32_e32 v113, 31, v112
	s_delay_alu instid0(VALU_DEP_4)
	v_add_co_ci_u32_e64 v144, s10, 0, v10, s10
	s_waitcnt lgkmcnt(2)
	v_cmp_eq_u64_e64 s10, 0, v[80:81]
	v_cmp_ne_u32_e64 s3, 32, v1
	v_cmp_ne_u32_e64 s4, v103, v1
	v_cmp_le_i32_e64 s6, v117, v22
	v_cmp_lt_i32_e64 s7, v117, v22
	v_ashrrev_i32_e32 v129, 31, v118
	s_ashr_i32 s21, s11, 5
	s_mov_b32 s20, 0
	s_xor_b32 s22, vcc_lo, -1
.LBB6_53:                               ; =>This Loop Header: Depth=1
                                        ;     Child Loop BB6_63 Depth 2
                                        ;     Child Loop BB6_93 Depth 2
	;; [unrolled: 1-line block ×10, first 2 shown]
	v_sub_co_u32 v10, vcc_lo, v4, v84
	v_sub_co_ci_u32_e32 v11, vcc_lo, v5, v85, vcc_lo
	v_mov_b32_e32 v12, 0
	s_delay_alu instid0(VALU_DEP_2) | instskip(SKIP_2) | instid1(VALU_DEP_2)
	v_cmp_lt_u64_e32 vcc_lo, v[70:71], v[10:11]
	v_cndmask_b32_e32 v86, v10, v70, vcc_lo
	v_cndmask_b32_e64 v87, v11, 0, vcc_lo
	v_add_nc_u32_e32 v10, 15, v86
	s_delay_alu instid0(VALU_DEP_2) | instskip(NEXT) | instid1(VALU_DEP_2)
	v_cmp_eq_u64_e32 vcc_lo, 0, v[86:87]
	v_and_b32_e32 v10, 0x3ffffff0, v10
	s_or_b32 s23, s2, vcc_lo
	s_delay_alu instid0(SALU_CYCLE_1) | instskip(NEXT) | instid1(VALU_DEP_1)
	s_xor_b32 s11, s23, -1
	v_max_i32_e32 v87, s21, v10
	s_and_saveexec_b32 s24, s11
	s_cbranch_execz .LBB6_878
; %bb.54:                               ;   in Loop: Header=BB6_53 Depth=1
	s_and_saveexec_b32 s11, s0
	s_cbranch_execz .LBB6_57
; %bb.55:                               ;   in Loop: Header=BB6_53 Depth=1
	s_cbranch_execnz .LBB6_2097
; %bb.56:                               ;   in Loop: Header=BB6_53 Depth=1
	ds_load_b64 v[10:11], v0
	v_lshlrev_b64 v[12:13], 1, v[84:85]
	v_mov_b32_e32 v29, v30
	s_waitcnt lgkmcnt(0)
	v_add_co_u32 v10, vcc_lo, v10, v82
	v_add_co_ci_u32_e32 v11, vcc_lo, v11, v83, vcc_lo
	s_delay_alu instid0(VALU_DEP_2) | instskip(NEXT) | instid1(VALU_DEP_2)
	v_add_co_u32 v10, vcc_lo, v10, v12
	v_add_co_ci_u32_e32 v11, vcc_lo, v11, v13, vcc_lo
	ds_store_b64 v0, v[10:11]
	ds_store_b64 v0, v[29:30]
.LBB6_57:                               ;   in Loop: Header=BB6_53 Depth=1
	s_or_b32 exec_lo, exec_lo, s11
	v_and_b32_e32 v10, 12, v102
	s_mov_b32 s12, -1
	s_mov_b32 s11, exec_lo
	s_delay_alu instid0(VALU_DEP_1)
	v_cmpx_ne_u32_e32 0, v10
	s_cbranch_execz .LBB6_71
; %bb.58:                               ;   in Loop: Header=BB6_53 Depth=1
	v_and_b32_e32 v12, 8, v102
	s_delay_alu instid0(VALU_DEP_1) | instskip(SKIP_4) | instid1(VALU_DEP_1)
	v_add_co_u32 v13, vcc_lo, v66, v12
	v_add_co_ci_u32_e32 v14, vcc_lo, 0, v67, vcc_lo
	s_waitcnt lgkmcnt(0)
	v_add_co_u32 v10, vcc_lo, v8, 1
	v_add_co_ci_u32_e32 v11, vcc_lo, 0, v9, vcc_lo
	v_cmp_lt_u64_e32 vcc_lo, v[13:14], v[10:11]
	v_mov_b32_e32 v13, 1
	s_and_saveexec_b32 s12, vcc_lo
	s_cbranch_execz .LBB6_70
; %bb.59:                               ;   in Loop: Header=BB6_53 Depth=1
	v_mov_b32_e32 v13, 0
	s_mov_b32 s13, 0
                                        ; implicit-def: $sgpr14
	s_branch .LBB6_63
.LBB6_60:                               ;   in Loop: Header=BB6_63 Depth=2
	s_or_b32 exec_lo, exec_lo, s28
	v_mov_b32_e32 v14, 0
	s_or_not1_b32 s27, s27, exec_lo
.LBB6_61:                               ;   in Loop: Header=BB6_63 Depth=2
	s_or_b32 exec_lo, exec_lo, s26
	s_delay_alu instid0(VALU_DEP_1) | instskip(SKIP_2) | instid1(SALU_CYCLE_1)
	v_mov_b32_e32 v13, v14
	s_and_not1_b32 s14, s14, exec_lo
	s_and_b32 s26, s27, exec_lo
	s_or_b32 s14, s14, s26
.LBB6_62:                               ;   in Loop: Header=BB6_63 Depth=2
	s_or_b32 exec_lo, exec_lo, s25
	s_waitcnt vmcnt(0) lgkmcnt(0)
	v_add_co_u32 v14, vcc_lo, v66, v12
	v_add_co_ci_u32_e32 v15, vcc_lo, 0, v67, vcc_lo
	s_xor_b32 s25, s14, -1
	s_delay_alu instid0(VALU_DEP_1) | instskip(SKIP_1) | instid1(SALU_CYCLE_1)
	v_cmp_ge_u64_e32 vcc_lo, v[14:15], v[10:11]
	s_or_b32 s25, s25, vcc_lo
	s_and_b32 s25, exec_lo, s25
	s_delay_alu instid0(SALU_CYCLE_1) | instskip(NEXT) | instid1(SALU_CYCLE_1)
	s_or_b32 s13, s25, s13
	s_and_not1_b32 exec_lo, exec_lo, s13
	s_cbranch_execz .LBB6_69
.LBB6_63:                               ;   Parent Loop BB6_53 Depth=1
                                        ; =>  This Inner Loop Header: Depth=2
	s_sleep 1
	flat_load_b64 v[66:67], v[54:55] glc
	v_and_b32_e32 v14, 64, v102
	s_and_not1_b32 s14, s14, exec_lo
	s_mov_b32 s25, exec_lo
	s_delay_alu instid0(VALU_DEP_1)
	v_cmpx_eq_u32_e32 0, v14
	s_cbranch_execz .LBB6_62
; %bb.64:                               ;   in Loop: Header=BB6_63 Depth=2
	v_add_nc_u32_e32 v14, 1, v13
	s_mov_b32 s27, -1
	s_mov_b32 s26, exec_lo
	v_cmpx_lt_i32_e32 0x270e, v13
	s_cbranch_execz .LBB6_61
; %bb.65:                               ;   in Loop: Header=BB6_63 Depth=2
	s_cbranch_execnz .LBB6_2119
; %bb.66:                               ;   in Loop: Header=BB6_63 Depth=2
	ds_load_b64 v[13:14], v0
	s_mov_b32 s28, exec_lo
	s_waitcnt vmcnt(0) lgkmcnt(0)
	s_waitcnt_vscnt null, 0x0
	flat_load_b32 v13, v[13:14] glc
	s_waitcnt vmcnt(0) lgkmcnt(0)
	buffer_gl1_inv
	buffer_gl0_inv
	v_cmpx_ne_u32_e32 0, v13
	s_cbranch_execz .LBB6_60
; %bb.67:                               ;   in Loop: Header=BB6_63 Depth=2
	ds_store_b32 v0, v13
	s_cbranch_execnz .LBB6_2152
; %bb.68:                               ;   in Loop: Header=BB6_63 Depth=2
	v_or_b32_e32 v102, 64, v102
	s_xor_b32 s27, exec_lo, -1
	s_branch .LBB6_60
.LBB6_69:                               ;   in Loop: Header=BB6_53 Depth=1
	s_or_b32 exec_lo, exec_lo, s13
	v_and_b32_e32 v13, 12, v102
.LBB6_70:                               ;   in Loop: Header=BB6_53 Depth=1
	s_or_b32 exec_lo, exec_lo, s12
	s_delay_alu instid0(VALU_DEP_1)
	v_cmp_eq_u32_e32 vcc_lo, 0, v13
	;;#ASMSTART
	s_wakeup
	;;#ASMEND
	s_or_not1_b32 s12, vcc_lo, exec_lo
.LBB6_71:                               ;   in Loop: Header=BB6_53 Depth=1
	s_or_b32 exec_lo, exec_lo, s11
	v_min_u32_e32 v87, v87, v86
	s_xor_b32 s11, s12, -1
	s_delay_alu instid0(SALU_CYCLE_1)
	s_and_saveexec_b32 s12, s11
	s_cbranch_execz .LBB6_84
; %bb.72:                               ;   in Loop: Header=BB6_53 Depth=1
	v_and_b32_e32 v10, 0x108, v102
	s_waitcnt lgkmcnt(0)
	v_and_b32_e32 v14, 7, v8
	s_mov_b32 s11, exec_lo
	s_delay_alu instid0(VALU_DEP_2) | instskip(SKIP_1) | instid1(SALU_CYCLE_1)
	v_cmpx_ne_u32_e32 0x108, v10
	s_xor_b32 s11, exec_lo, s11
	s_and_not1_saveexec_b32 s11, s11
	s_cbranch_execz .LBB6_74
; %bb.73:                               ;   in Loop: Header=BB6_53 Depth=1
	v_mad_u64_u32 v[10:11], null, v14, 24, v[6:7]
	v_dual_mov_b32 v13, v30 :: v_dual_lshlrev_b32 v12, 1, v87
	flat_store_b64 v[10:11], v[12:13] offset:8
.LBB6_74:                               ;   in Loop: Header=BB6_53 Depth=1
	s_or_b32 exec_lo, exec_lo, s11
	v_and_b32_e32 v10, 0x100, v102
	s_mov_b32 s11, -1
	s_delay_alu instid0(VALU_DEP_1)
	v_cmp_ne_u32_e32 vcc_lo, 0, v10
                                        ; implicit-def: $vgpr10_vgpr11
	s_and_saveexec_b32 s13, vcc_lo
	s_cbranch_execnz .LBB6_77
; %bb.75:                               ;   in Loop: Header=BB6_53 Depth=1
	s_or_b32 exec_lo, exec_lo, s13
	s_and_saveexec_b32 s13, s11
	s_cbranch_execnz .LBB6_80
.LBB6_76:                               ;   in Loop: Header=BB6_53 Depth=1
	s_or_b32 exec_lo, exec_lo, s13
	s_cbranch_execnz .LBB6_2113
	s_branch .LBB6_81
.LBB6_77:                               ;   in Loop: Header=BB6_53 Depth=1
	v_mad_u64_u32 v[12:13], null, v14, 24, v[6:7]
	s_delay_alu instid0(VALU_DEP_1) | instskip(NEXT) | instid1(VALU_DEP_1)
	v_mov_b32_e32 v10, v13
	v_mad_u64_u32 v[15:16], null, v30, 24, v[10:11]
	s_delay_alu instid0(VALU_DEP_1) | instskip(SKIP_4) | instid1(VALU_DEP_1)
	v_mov_b32_e32 v13, v15
	flat_load_b32 v10, v[12:13]
	s_waitcnt vmcnt(0) lgkmcnt(0)
	v_cmp_ne_u32_e32 vcc_lo, 1, v10
	v_cmp_eq_u32_e64 s11, 1, v10
                                        ; implicit-def: $vgpr10_vgpr11
	s_and_saveexec_b32 s14, s11
	s_cbranch_execz .LBB6_79
; %bb.78:                               ;   in Loop: Header=BB6_53 Depth=1
	flat_load_b32 v10, v[12:13] offset:4 glc
	s_waitcnt vmcnt(0) lgkmcnt(0)
	v_ashrrev_i32_e32 v11, 31, v10
	s_delay_alu instid0(VALU_DEP_1)
	v_lshrrev_b64 v[10:11], 1, v[10:11]
.LBB6_79:                               ;   in Loop: Header=BB6_53 Depth=1
	s_or_b32 exec_lo, exec_lo, s14
	s_delay_alu instid0(SALU_CYCLE_1)
	s_or_not1_b32 s11, vcc_lo, exec_lo
	s_or_b32 exec_lo, exec_lo, s13
	s_and_saveexec_b32 s13, s11
	s_cbranch_execz .LBB6_76
.LBB6_80:                               ;   in Loop: Header=BB6_53 Depth=1
	v_mul_lo_u32 v12, v30, v112
	v_mul_lo_u32 v13, v14, v113
	v_mad_u64_u32 v[10:11], null, v14, v112, 0
	s_delay_alu instid0(VALU_DEP_1)
	v_add3_u32 v11, v11, v13, v12
	s_or_b32 exec_lo, exec_lo, s13
	s_cbranch_execnz .LBB6_2113
.LBB6_81:                               ;   in Loop: Header=BB6_53 Depth=1
	s_delay_alu instid0(VALU_DEP_1) | instskip(SKIP_2) | instid1(VALU_DEP_2)
	v_lshlrev_b64 v[10:11], 1, v[10:11]
	v_and_b32_e32 v12, 0x2000, v102
	s_mov_b32 s11, exec_lo
	v_add_co_u32 v10, vcc_lo, v64, v10
	s_delay_alu instid0(VALU_DEP_3)
	v_add_co_ci_u32_e32 v11, vcc_lo, v65, v11, vcc_lo
	ds_store_b64 v0, v[10:11]
	v_cmpx_ne_u32_e32 0, v12
	s_cbranch_execz .LBB6_83
; %bb.82:                               ;   in Loop: Header=BB6_53 Depth=1
	ds_load_b64 v[10:11], v0 offset:584
	s_waitcnt lgkmcnt(0)
	v_add_co_u32 v10, vcc_lo, v10, 1
	v_add_co_ci_u32_e32 v11, vcc_lo, 0, v11, vcc_lo
	ds_store_b64 v0, v[10:11] offset:584
.LBB6_83:                               ;   in Loop: Header=BB6_53 Depth=1
	s_or_b32 exec_lo, exec_lo, s11
	v_add_co_u32 v8, vcc_lo, v8, 1
	v_add_co_ci_u32_e32 v9, vcc_lo, 0, v9, vcc_lo
.LBB6_84:                               ;   in Loop: Header=BB6_53 Depth=1
	s_or_b32 exec_lo, exec_lo, s12
	s_and_saveexec_b32 s11, s3
	s_cbranch_execz .LBB6_106
; %bb.85:                               ;   in Loop: Header=BB6_53 Depth=1
	s_and_saveexec_b32 s12, s4
	s_delay_alu instid0(SALU_CYCLE_1)
	s_xor_b32 s12, exec_lo, s12
	s_cbranch_execz .LBB6_103
; %bb.86:                               ;   in Loop: Header=BB6_53 Depth=1
	s_and_saveexec_b32 s13, s5
	s_cbranch_execz .LBB6_102
; %bb.87:                               ;   in Loop: Header=BB6_53 Depth=1
	s_mov_b32 s25, exec_lo
	s_mov_b32 s14, exec_lo
	v_mbcnt_lo_u32_b32 v10, s25, 0
	s_waitcnt lgkmcnt(0)
	s_waitcnt_vscnt null, 0x0
	buffer_gl1_inv
	buffer_gl0_inv
	v_cmpx_eq_u32_e32 0, v10
	s_cbranch_execz .LBB6_89
; %bb.88:                               ;   in Loop: Header=BB6_53 Depth=1
	s_bcnt1_i32_b32 s25, s25
	s_delay_alu instid0(SALU_CYCLE_1)
	v_mov_b32_e32 v29, s25
	ds_add_u64 v0, v[29:30]
	s_cbranch_execnz .LBB6_2182
.LBB6_89:                               ;   in Loop: Header=BB6_53 Depth=1
	s_or_b32 exec_lo, exec_lo, s14
	s_cbranch_execnz .LBB6_2170
; %bb.90:                               ;   in Loop: Header=BB6_53 Depth=1
	ds_load_b64 v[10:11], v0
	v_add_co_u32 v68, vcc_lo, v68, v114
	v_add_co_ci_u32_e32 v69, vcc_lo, 0, v69, vcc_lo
	s_mov_b32 s14, exec_lo
	s_waitcnt lgkmcnt(0)
	s_delay_alu instid0(VALU_DEP_1)
	v_cmpx_lt_u64_e64 v[10:11], v[68:69]
	s_cbranch_execz .LBB6_101
; %bb.91:                               ;   in Loop: Header=BB6_53 Depth=1
	s_mov_b32 s25, 0
	s_mov_b32 s28, 0
                                        ; implicit-def: $sgpr26
                                        ; implicit-def: $sgpr27
	s_branch .LBB6_93
.LBB6_92:                               ;   in Loop: Header=BB6_93 Depth=2
	s_or_b32 exec_lo, exec_lo, vcc_hi
	s_delay_alu instid0(SALU_CYCLE_1) | instskip(NEXT) | instid1(SALU_CYCLE_1)
	s_and_b32 s29, exec_lo, vcc_lo
	s_or_b32 s25, s29, s25
	s_and_not1_b32 s26, s26, exec_lo
	s_and_b32 s29, s27, exec_lo
	s_delay_alu instid0(SALU_CYCLE_1)
	s_or_b32 s26, s26, s29
	s_and_not1_b32 exec_lo, exec_lo, s25
	s_cbranch_execz .LBB6_99
.LBB6_93:                               ;   Parent Loop BB6_53 Depth=1
                                        ; =>  This Inner Loop Header: Depth=2
	s_add_i32 s28, s28, 1
                                        ; implicit-def: $vcc_hi
	s_delay_alu instid0(SALU_CYCLE_1) | instskip(SKIP_1) | instid1(SALU_CYCLE_1)
	s_cmpk_lg_i32 s28, 0x2710
	s_cselect_b32 s29, -1, 0
	s_and_b32 vcc_lo, exec_lo, s29
	s_cbranch_vccz .LBB6_97
.LBB6_94:                               ;   in Loop: Header=BB6_93 Depth=2
	s_and_not1_b32 s27, s27, exec_lo
	s_and_b32 vcc_hi, vcc_hi, exec_lo
	s_mov_b32 vcc_lo, -1
	s_or_b32 s27, s27, vcc_hi
	s_and_saveexec_b32 vcc_hi, s29
	s_cbranch_execz .LBB6_92
; %bb.95:                               ;   in Loop: Header=BB6_93 Depth=2
	s_sleep 1
	s_cbranch_execnz .LBB6_2214
; %bb.96:                               ;   in Loop: Header=BB6_93 Depth=2
	ds_load_b64 v[10:11], v0
	s_and_not1_b32 s27, s27, exec_lo
	s_waitcnt lgkmcnt(0)
	v_cmp_ge_u64_e32 vcc_lo, v[10:11], v[68:69]
	s_or_not1_b32 vcc_lo, vcc_lo, exec_lo
	s_branch .LBB6_92
.LBB6_97:                               ;   in Loop: Header=BB6_93 Depth=2
	s_cbranch_execnz .LBB6_2222
; %bb.98:                               ;   in Loop: Header=BB6_93 Depth=2
	ds_load_b64 v[10:11], v0
	s_and_not1_b32 s29, s29, exec_lo
	s_mov_b32 s28, 0
	s_waitcnt lgkmcnt(0)
	flat_load_b32 v10, v[10:11] glc
	s_waitcnt vmcnt(0) lgkmcnt(0)
	buffer_gl1_inv
	buffer_gl0_inv
	v_cmp_eq_u32_e32 vcc_lo, 0, v10
	s_mov_b32 vcc_hi, -1
	s_and_b32 vcc_lo, vcc_lo, exec_lo
	s_delay_alu instid0(SALU_CYCLE_1)
	s_or_b32 s29, s29, vcc_lo
	s_branch .LBB6_94
.LBB6_99:                               ;   in Loop: Header=BB6_53 Depth=1
	s_or_b32 exec_lo, exec_lo, s25
	s_and_saveexec_b32 s25, s26
	s_delay_alu instid0(SALU_CYCLE_1)
	s_xor_b32 s25, exec_lo, s25
	s_cbranch_execz .LBB6_101
; %bb.100:                              ;   in Loop: Header=BB6_53 Depth=1
	ds_store_b32 v0, v145
	s_cbranch_execnz .LBB6_2300
.LBB6_101:                              ;   in Loop: Header=BB6_53 Depth=1
	s_or_b32 exec_lo, exec_lo, s14
	;;#ASMSTART
	s_wakeup
	;;#ASMEND
.LBB6_102:                              ;   in Loop: Header=BB6_53 Depth=1
	s_or_b32 exec_lo, exec_lo, s13
.LBB6_103:                              ;   in Loop: Header=BB6_53 Depth=1
	s_and_not1_saveexec_b32 s12, s12
	s_cbranch_execz .LBB6_105
; %bb.104:                              ;   in Loop: Header=BB6_53 Depth=1
	s_waitcnt lgkmcnt(0)
	s_waitcnt_vscnt null, 0x0
	buffer_gl1_inv
	buffer_gl0_inv
	s_barrier
.LBB6_105:                              ;   in Loop: Header=BB6_53 Depth=1
	s_or_b32 exec_lo, exec_lo, s12
.LBB6_106:                              ;   in Loop: Header=BB6_53 Depth=1
	s_delay_alu instid0(SALU_CYCLE_1)
	s_or_b32 exec_lo, exec_lo, s11
	s_cbranch_execnz .LBB6_2103
; %bb.107:                              ;   in Loop: Header=BB6_53 Depth=1
	ds_load_b32 v10, v0
	v_and_b32_e32 v11, 0x4000, v102
	s_delay_alu instid0(VALU_DEP_1) | instskip(SKIP_1) | instid1(SALU_CYCLE_1)
	v_cmp_ne_u32_e32 vcc_lo, 0, v11
	s_and_b32 s12, s22, vcc_lo
	s_and_saveexec_b32 s11, s12
	s_cbranch_execz .LBB6_129
; %bb.108:                              ;   in Loop: Header=BB6_53 Depth=1
	s_and_saveexec_b32 s12, s4
	s_delay_alu instid0(SALU_CYCLE_1)
	s_xor_b32 s12, exec_lo, s12
	s_cbranch_execz .LBB6_126
; %bb.109:                              ;   in Loop: Header=BB6_53 Depth=1
	s_and_saveexec_b32 s13, s5
	s_cbranch_execz .LBB6_125
; %bb.110:                              ;   in Loop: Header=BB6_53 Depth=1
	s_mov_b32 s25, exec_lo
	s_mov_b32 s14, exec_lo
	v_mbcnt_lo_u32_b32 v11, s25, 0
	s_waitcnt lgkmcnt(0)
	s_waitcnt_vscnt null, 0x0
	buffer_gl1_inv
	buffer_gl0_inv
	v_cmpx_eq_u32_e32 0, v11
	s_cbranch_execz .LBB6_112
; %bb.111:                              ;   in Loop: Header=BB6_53 Depth=1
	s_bcnt1_i32_b32 s25, s25
	s_delay_alu instid0(SALU_CYCLE_1)
	v_mov_b32_e32 v29, s25
	ds_add_u64 v0, v[29:30]
	s_cbranch_execnz .LBB6_2210
.LBB6_112:                              ;   in Loop: Header=BB6_53 Depth=1
	s_or_b32 exec_lo, exec_lo, s14
	s_cbranch_execnz .LBB6_2198
; %bb.113:                              ;   in Loop: Header=BB6_53 Depth=1
	ds_load_b64 v[11:12], v0
	v_add_co_u32 v68, vcc_lo, v68, v114
	v_add_co_ci_u32_e32 v69, vcc_lo, 0, v69, vcc_lo
	s_mov_b32 s14, exec_lo
	s_waitcnt lgkmcnt(0)
	s_delay_alu instid0(VALU_DEP_1)
	v_cmpx_lt_u64_e64 v[11:12], v[68:69]
	s_cbranch_execz .LBB6_124
; %bb.114:                              ;   in Loop: Header=BB6_53 Depth=1
	s_mov_b32 s25, 0
	s_mov_b32 s28, 0
                                        ; implicit-def: $sgpr26
                                        ; implicit-def: $sgpr27
	s_branch .LBB6_116
.LBB6_115:                              ;   in Loop: Header=BB6_116 Depth=2
	s_or_b32 exec_lo, exec_lo, vcc_hi
	s_delay_alu instid0(SALU_CYCLE_1) | instskip(NEXT) | instid1(SALU_CYCLE_1)
	s_and_b32 s29, exec_lo, vcc_lo
	s_or_b32 s25, s29, s25
	s_and_not1_b32 s26, s26, exec_lo
	s_and_b32 s29, s27, exec_lo
	s_delay_alu instid0(SALU_CYCLE_1)
	s_or_b32 s26, s26, s29
	s_and_not1_b32 exec_lo, exec_lo, s25
	s_cbranch_execz .LBB6_122
.LBB6_116:                              ;   Parent Loop BB6_53 Depth=1
                                        ; =>  This Inner Loop Header: Depth=2
	s_add_i32 s28, s28, 1
                                        ; implicit-def: $vcc_hi
	s_delay_alu instid0(SALU_CYCLE_1) | instskip(SKIP_1) | instid1(SALU_CYCLE_1)
	s_cmpk_lg_i32 s28, 0x2710
	s_cselect_b32 s29, -1, 0
	s_and_b32 vcc_lo, exec_lo, s29
	s_cbranch_vccz .LBB6_120
.LBB6_117:                              ;   in Loop: Header=BB6_116 Depth=2
	s_and_not1_b32 s27, s27, exec_lo
	s_and_b32 vcc_hi, vcc_hi, exec_lo
	s_mov_b32 vcc_lo, -1
	s_or_b32 s27, s27, vcc_hi
	s_and_saveexec_b32 vcc_hi, s29
	s_cbranch_execz .LBB6_115
; %bb.118:                              ;   in Loop: Header=BB6_116 Depth=2
	s_sleep 1
	s_cbranch_execnz .LBB6_2256
; %bb.119:                              ;   in Loop: Header=BB6_116 Depth=2
	ds_load_b64 v[11:12], v0
	s_and_not1_b32 s27, s27, exec_lo
	s_waitcnt lgkmcnt(0)
	v_cmp_ge_u64_e32 vcc_lo, v[11:12], v[68:69]
	s_or_not1_b32 vcc_lo, vcc_lo, exec_lo
	s_branch .LBB6_115
.LBB6_120:                              ;   in Loop: Header=BB6_116 Depth=2
	s_cbranch_execnz .LBB6_2270
; %bb.121:                              ;   in Loop: Header=BB6_116 Depth=2
	ds_load_b64 v[11:12], v0
	s_and_not1_b32 s29, s29, exec_lo
	s_mov_b32 s28, 0
	s_waitcnt lgkmcnt(0)
	flat_load_b32 v11, v[11:12] glc
	s_waitcnt vmcnt(0) lgkmcnt(0)
	buffer_gl1_inv
	buffer_gl0_inv
	v_cmp_eq_u32_e32 vcc_lo, 0, v11
	s_mov_b32 vcc_hi, -1
	s_and_b32 vcc_lo, vcc_lo, exec_lo
	s_delay_alu instid0(SALU_CYCLE_1)
	s_or_b32 s29, s29, vcc_lo
	s_branch .LBB6_117
.LBB6_122:                              ;   in Loop: Header=BB6_53 Depth=1
	s_or_b32 exec_lo, exec_lo, s25
	s_and_saveexec_b32 s25, s26
	s_delay_alu instid0(SALU_CYCLE_1)
	s_xor_b32 s25, exec_lo, s25
	s_cbranch_execz .LBB6_124
; %bb.123:                              ;   in Loop: Header=BB6_53 Depth=1
	ds_store_b32 v0, v145
	s_cbranch_execnz .LBB6_2310
.LBB6_124:                              ;   in Loop: Header=BB6_53 Depth=1
	s_or_b32 exec_lo, exec_lo, s14
	;;#ASMSTART
	s_wakeup
	;;#ASMEND
.LBB6_125:                              ;   in Loop: Header=BB6_53 Depth=1
	s_or_b32 exec_lo, exec_lo, s13
.LBB6_126:                              ;   in Loop: Header=BB6_53 Depth=1
	s_and_not1_saveexec_b32 s12, s12
	s_cbranch_execz .LBB6_128
; %bb.127:                              ;   in Loop: Header=BB6_53 Depth=1
	s_waitcnt lgkmcnt(0)
	s_waitcnt_vscnt null, 0x0
	buffer_gl1_inv
	buffer_gl0_inv
	s_barrier
.LBB6_128:                              ;   in Loop: Header=BB6_53 Depth=1
	s_or_b32 exec_lo, exec_lo, s12
.LBB6_129:                              ;   in Loop: Header=BB6_53 Depth=1
	s_delay_alu instid0(SALU_CYCLE_1)
	s_or_b32 exec_lo, exec_lo, s11
	s_cbranch_execnz .LBB6_2138
; %bb.130:                              ;   in Loop: Header=BB6_53 Depth=1
	ds_load_b64 v[11:12], v0
	s_waitcnt lgkmcnt(0)
	v_cmp_eq_u64_e32 vcc_lo, 0, v[11:12]
	s_or_b32 s11, vcc_lo, vcc_lo
	s_delay_alu instid0(SALU_CYCLE_1)
	s_and_b32 vcc_lo, exec_lo, s11
	s_mov_b32 s11, 0
	s_cbranch_vccnz .LBB6_849
; %bb.131:                              ;   in Loop: Header=BB6_53 Depth=1
	s_cbranch_execnz .LBB6_2164
; %bb.132:                              ;   in Loop: Header=BB6_53 Depth=1
	ds_load_b64 v[11:12], v0
	s_mov_b32 s11, -1
	s_waitcnt lgkmcnt(0)
	v_readfirstlane_b32 s25, v11
	s_and_saveexec_b32 s12, s6
	s_cbranch_execz .LBB6_134
; %bb.133:                              ;   in Loop: Header=BB6_53 Depth=1
	ds_load_b32 v11, v0 offset:720
	s_waitcnt lgkmcnt(0)
	v_and_b32_e32 v11, 15, v11
	s_delay_alu instid0(VALU_DEP_1)
	v_cmp_eq_u32_e32 vcc_lo, 0, v11
	s_or_not1_b32 s11, vcc_lo, exec_lo
.LBB6_134:                              ;   in Loop: Header=BB6_53 Depth=1
	s_or_b32 exec_lo, exec_lo, s12
	s_and_saveexec_b32 s12, s7
	s_cbranch_execz .LBB6_136
; %bb.135:                              ;   in Loop: Header=BB6_53 Depth=1
	ds_load_b32 v11, v0 offset:784
	s_waitcnt lgkmcnt(0)
	v_and_b32_e32 v11, 15, v11
	s_delay_alu instid0(VALU_DEP_1) | instskip(SKIP_3) | instid1(SALU_CYCLE_1)
	v_cmp_eq_u32_e32 vcc_lo, 0, v11
	s_and_b32 s13, s11, vcc_lo
	s_and_not1_b32 s11, s11, exec_lo
	s_and_b32 s13, s13, exec_lo
	s_or_b32 s11, s11, s13
.LBB6_136:                              ;   in Loop: Header=BB6_53 Depth=1
	s_or_b32 exec_lo, exec_lo, s12
	v_cmp_eq_u32_e32 vcc_lo, 0, v10
	s_xor_b32 s11, s11, -1
	v_mov_b32_e32 v16, 0
	v_cndmask_b32_e64 v11, 0, 1, s11
	;;#ASMSTART
	;;#ASMEND
	v_cndmask_b32_e32 v146, 0, v87, vcc_lo
	s_delay_alu instid0(VALU_DEP_2) | instskip(SKIP_1) | instid1(VALU_DEP_2)
	v_cmp_ne_u32_e32 vcc_lo, 0, v11
	s_mov_b32 s11, -1
	v_lshlrev_b32_e32 v147, 1, v146
	s_cbranch_vccz .LBB6_138
; %bb.137:                              ;   in Loop: Header=BB6_53 Depth=1
	v_dual_mov_b32 v17, v0 :: v_dual_mov_b32 v10, v115
	s_branch .LBB6_633
.LBB6_138:                              ;   in Loop: Header=BB6_53 Depth=1
	v_lshrrev_b32_e32 v149, 10, v146
	s_mov_b32 s14, exec_lo
	s_delay_alu instid0(VALU_DEP_1) | instskip(NEXT) | instid1(VALU_DEP_1)
	v_sub_nc_u32_e32 v148, v149, v115
	v_cmpx_lt_i32_e32 0, v148
	s_cbranch_execz .LBB6_527
; %bb.139:                              ;   in Loop: Header=BB6_53 Depth=1
	s_cbranch_execnz .LBB6_2264
; %bb.140:                              ;   in Loop: Header=BB6_53 Depth=1
	ds_load_b128 v[10:13], v0
	ds_load_b64 v[14:15], v0
	s_bitcmp1_b32 s25, 0
	s_mov_b32 s26, 0
	s_cselect_b32 s27, -1, 0
	s_waitcnt lgkmcnt(1)
	v_add_co_u32 v96, vcc_lo, v10, v118
	v_add_co_ci_u32_e32 v97, vcc_lo, v11, v129, vcc_lo
	v_add_co_u32 v98, vcc_lo, v12, v118
	v_add_co_ci_u32_e32 v99, vcc_lo, v13, v129, vcc_lo
	s_waitcnt lgkmcnt(0)
	v_add_co_u32 v100, vcc_lo, v14, v118
	v_add_co_ci_u32_e32 v101, vcc_lo, v15, v129, vcc_lo
	s_branch .LBB6_144
.LBB6_141:                              ;   in Loop: Header=BB6_144 Depth=2
	s_or_b32 exec_lo, exec_lo, s28
	s_delay_alu instid0(VALU_DEP_1)
	v_mov_b32_e32 v161, v151
.LBB6_142:                              ;   in Loop: Header=BB6_144 Depth=2
	s_or_b32 exec_lo, exec_lo, s13
	s_delay_alu instid0(VALU_DEP_1)
	v_mov_b32_e32 v13, v161
.LBB6_143:                              ;   in Loop: Header=BB6_144 Depth=2
	v_lshlrev_b32_e32 v17, 16, v22
	v_and_b32_e32 v19, 0xffff, v19
	v_lshlrev_b32_e32 v18, 16, v18
	v_and_b32_e32 v22, 0xffff, v35
	;; [unrolled: 2-line block ×3, first 2 shown]
	v_and_b32_e32 v27, 0xffff, v27
	v_lshlrev_b32_e32 v10, 16, v10
	v_or_b32_e32 v22, v18, v22
	v_or3_b32 v18, v17, v19, 0
	v_or_b32_e32 v19, v20, v23
	v_lshlrev_b32_e32 v20, 16, v21
	v_and_b32_e32 v21, 0xffff, v24
	v_lshlrev_b32_e32 v23, 16, v32
	v_lshlrev_b32_e32 v24, 16, v26
	v_and_b32_e32 v26, 0xffff, v51
	v_or3_b32 v17, 0, 0, v22
	v_or3_b32 v20, v20, v21, 0
	;; [unrolled: 1-line block ×3, first 2 shown]
	v_lshlrev_b32_e32 v23, 16, v28
	v_or_b32_e32 v21, v24, v26
	v_and_b32_e32 v24, 0xffff, v33
	v_lshlrev_b32_e32 v26, 16, v29
	v_and_b32_e32 v27, 0xffff, v34
	v_lshlrev_b32_e32 v28, 16, v36
	v_and_b32_e32 v29, 0xffff, v150
	v_or_b32_e32 v23, v23, v24
	v_and_b32_e32 v32, 0xffff, v49
	v_or3_b32 v24, v26, v27, 0
	v_lshlrev_b32_e32 v26, 16, v48
	v_and_b32_e32 v27, 0xffff, v37
	v_or_b32_e32 v28, v28, v29
	v_lshlrev_b32_e32 v29, 16, v50
	v_and_b32_e32 v25, 0xffff, v25
	v_lshlrev_b32_e32 v12, 16, v12
	v_and_b32_e32 v15, 0xffff, v15
	;; [unrolled: 2-line block ×3, first 2 shown]
	v_or3_b32 v27, v26, v27, 0
	v_or3_b32 v26, 0, 0, v28
	v_or_b32_e32 v28, v29, v32
	v_lshlrev_b32_e32 v14, 16, v14
	v_and_b32_e32 v11, 0xffff, v11
	v_or_b32_e32 v10, v10, v25
	v_lshlrev_b32_e32 v13, 16, v13
	v_and_b32_e32 v16, 0xffff, v16
	v_or_b32_e32 v12, v12, v15
	v_add_co_u32 v96, vcc_lo, v96, v119
	v_or3_b32 v29, v33, v34, 0
	v_or3_b32 v28, 0, 0, v28
	v_sub_nc_u32_e32 v148, v148, v114
	v_or3_b32 v21, 0, 0, v21
	v_or3_b32 v23, 0, 0, v23
	v_add_co_ci_u32_e32 v97, vcc_lo, v97, v128, vcc_lo
	v_or3_b32 v19, 0, 0, v19
	v_add_co_u32 v98, vcc_lo, v98, v119
	v_or3_b32 v11, v14, v11, 0
	v_or3_b32 v10, 0, 0, v10
	;; [unrolled: 1-line block ×4, first 2 shown]
	v_add_co_ci_u32_e32 v99, vcc_lo, v99, v128, vcc_lo
	s_clause 0x3
	global_store_b128 v[100:101], v[26:29], off glc slc dlc
	global_store_b128 v[100:101], v[21:24], off offset:512 glc slc dlc
	global_store_b128 v[100:101], v[17:20], off offset:1024 glc slc dlc
	global_store_b128 v[100:101], v[10:13], off offset:1536 glc slc dlc
	v_cmp_gt_i32_e32 vcc_lo, 1, v148
	v_add_co_u32 v100, s11, v100, v119
	s_delay_alu instid0(VALU_DEP_1) | instskip(SKIP_1) | instid1(SALU_CYCLE_1)
	v_add_co_ci_u32_e64 v101, s11, v101, v128, s11
	s_or_b32 s26, vcc_lo, s26
	s_and_not1_b32 exec_lo, exec_lo, s26
	s_cbranch_execz .LBB6_526
.LBB6_144:                              ;   Parent Loop BB6_53 Depth=1
                                        ; =>  This Inner Loop Header: Depth=2
	global_load_b128 v[48:51], v[96:97], off slc dlc
	global_load_b128 v[36:39], v[98:99], off slc dlc
	s_clause 0x2
	global_load_b128 v[32:35], v[96:97], off offset:512 slc dlc
	global_load_b128 v[22:25], v[96:97], off offset:1024 slc dlc
	;; [unrolled: 1-line block ×3, first 2 shown]
	s_clause 0x2
	global_load_b128 v[26:29], v[98:99], off offset:512 slc dlc
	global_load_b128 v[18:21], v[98:99], off offset:1024 slc dlc
	;; [unrolled: 1-line block ×3, first 2 shown]
	s_mov_b32 s13, -1
	s_and_b32 vcc_lo, exec_lo, s27
	s_waitcnt vmcnt(7)
	v_and_b32_e32 v150, 0x7fff, v48
	s_waitcnt vmcnt(6)
	v_and_b32_e32 v151, 0x7fff, v36
	v_perm_b32 v160, v36, v48, 0x5040100
	s_delay_alu instid0(VALU_DEP_3) | instskip(NEXT) | instid1(VALU_DEP_3)
	v_cmp_lt_u16_e64 s11, 0x7c00, v150
	v_cmp_gt_u16_e64 s12, 0x7c01, v151
                                        ; implicit-def: $vgpr150
	s_delay_alu instid0(VALU_DEP_1) | instskip(NEXT) | instid1(SALU_CYCLE_1)
	s_and_b32 s28, s11, s12
	s_xor_b32 s28, s28, -1
	s_cbranch_vccz .LBB6_150
; %bb.145:                              ;   in Loop: Header=BB6_144 Depth=2
	v_mov_b32_e32 v150, v36
	s_and_saveexec_b32 s29, s28
	s_cbranch_execz .LBB6_149
; %bb.146:                              ;   in Loop: Header=BB6_144 Depth=2
	v_mov_b32_e32 v150, v48
	s_or_b32 s13, s11, s12
	s_delay_alu instid0(SALU_CYCLE_1)
	s_and_saveexec_b32 vcc_hi, s13
; %bb.147:                              ;   in Loop: Header=BB6_144 Depth=2
	v_lshrrev_b32_e32 v150, 16, v160
	v_cmp_lt_u16_e64 vcc_lo, 0x7c00, v151
	s_delay_alu instid0(VALU_DEP_2) | instskip(NEXT) | instid1(VALU_DEP_1)
	v_cmp_gt_f16_e64 s13, v160, v150
	v_cndmask_b32_e64 v150, v150, v160, s13
	s_delay_alu instid0(VALU_DEP_3)
	s_and_b32 s13, s11, vcc_lo
	s_delay_alu instid0(VALU_DEP_1) | instid1(SALU_CYCLE_1)
	v_cndmask_b32_e64 v150, v150, 0x7fff, s13
; %bb.148:                              ;   in Loop: Header=BB6_144 Depth=2
	s_or_b32 exec_lo, exec_lo, vcc_hi
.LBB6_149:                              ;   in Loop: Header=BB6_144 Depth=2
	s_delay_alu instid0(SALU_CYCLE_1)
	s_or_b32 exec_lo, exec_lo, s29
	s_mov_b32 s13, 0
.LBB6_150:                              ;   in Loop: Header=BB6_144 Depth=2
	s_delay_alu instid0(SALU_CYCLE_1)
	s_and_not1_b32 vcc_lo, exec_lo, s13
	s_cbranch_vccnz .LBB6_156
; %bb.151:                              ;   in Loop: Header=BB6_144 Depth=2
	v_mov_b32_e32 v150, v36
	s_and_saveexec_b32 s13, s28
	s_cbranch_execz .LBB6_155
; %bb.152:                              ;   in Loop: Header=BB6_144 Depth=2
	v_mov_b32_e32 v150, v48
	s_or_b32 s12, s11, s12
	s_delay_alu instid0(SALU_CYCLE_1)
	s_and_saveexec_b32 s28, s12
; %bb.153:                              ;   in Loop: Header=BB6_144 Depth=2
	v_lshrrev_b32_e32 v150, 16, v160
	v_cmp_lt_u16_e64 vcc_lo, 0x7c00, v151
	s_delay_alu instid0(VALU_DEP_2) | instskip(NEXT) | instid1(VALU_DEP_2)
	v_cmp_gt_f16_e64 s12, v160, v150
	s_and_b32 s11, s11, vcc_lo
	s_delay_alu instid0(VALU_DEP_1) | instskip(NEXT) | instid1(VALU_DEP_1)
	v_cndmask_b32_e64 v150, v160, v150, s12
	v_cndmask_b32_e64 v150, v150, 0x7fff, s11
; %bb.154:                              ;   in Loop: Header=BB6_144 Depth=2
	s_or_b32 exec_lo, exec_lo, s28
.LBB6_155:                              ;   in Loop: Header=BB6_144 Depth=2
	s_delay_alu instid0(SALU_CYCLE_1)
	s_or_b32 exec_lo, exec_lo, s13
.LBB6_156:                              ;   in Loop: Header=BB6_144 Depth=2
	v_mov_b32_e32 v162, v48
	v_mov_b32_e32 v48, v49
	;; [unrolled: 1-line block ×3, first 2 shown]
	s_mov_b32 s13, -1
	s_and_b32 vcc_lo, exec_lo, s27
	v_lshrrev_b32_e32 v151, 16, v162
	s_delay_alu instid0(VALU_DEP_1) | instskip(NEXT) | instid1(VALU_DEP_1)
	v_dual_mov_b32 v163, v36 :: v_dual_and_b32 v36, 0x7fff, v151
	v_lshrrev_b32_e32 v161, 16, v163
	v_perm_b32 v37, v163, v162, 0x7060302
	s_delay_alu instid0(VALU_DEP_3) | instskip(NEXT) | instid1(VALU_DEP_3)
	v_cmp_lt_u16_e64 s11, 0x7c00, v36
	v_and_b32_e32 v160, 0x7fff, v161
                                        ; implicit-def: $vgpr36
	s_delay_alu instid0(VALU_DEP_1) | instskip(NEXT) | instid1(VALU_DEP_1)
	v_cmp_gt_u16_e64 s12, 0x7c01, v160
	s_and_b32 s28, s11, s12
	s_delay_alu instid0(SALU_CYCLE_1)
	s_xor_b32 s28, s28, -1
	s_cbranch_vccz .LBB6_162
; %bb.157:                              ;   in Loop: Header=BB6_144 Depth=2
	v_mov_b32_e32 v36, v161
	s_and_saveexec_b32 s29, s28
	s_cbranch_execz .LBB6_161
; %bb.158:                              ;   in Loop: Header=BB6_144 Depth=2
	v_mov_b32_e32 v36, v151
	s_or_b32 s13, s11, s12
	s_delay_alu instid0(SALU_CYCLE_1)
	s_and_saveexec_b32 vcc_hi, s13
; %bb.159:                              ;   in Loop: Header=BB6_144 Depth=2
	v_lshrrev_b32_e32 v36, 16, v37
	v_cmp_lt_u16_e64 vcc_lo, 0x7c00, v160
	s_delay_alu instid0(VALU_DEP_2) | instskip(NEXT) | instid1(VALU_DEP_1)
	v_cmp_gt_f16_e64 s13, v37, v36
	v_cndmask_b32_e64 v36, v36, v37, s13
	s_delay_alu instid0(VALU_DEP_3)
	s_and_b32 s13, s11, vcc_lo
	s_delay_alu instid0(VALU_DEP_1) | instid1(SALU_CYCLE_1)
	v_cndmask_b32_e64 v36, v36, 0x7fff, s13
; %bb.160:                              ;   in Loop: Header=BB6_144 Depth=2
	s_or_b32 exec_lo, exec_lo, vcc_hi
.LBB6_161:                              ;   in Loop: Header=BB6_144 Depth=2
	s_delay_alu instid0(SALU_CYCLE_1)
	s_or_b32 exec_lo, exec_lo, s29
	s_mov_b32 s13, 0
.LBB6_162:                              ;   in Loop: Header=BB6_144 Depth=2
	s_delay_alu instid0(SALU_CYCLE_1)
	s_and_not1_b32 vcc_lo, exec_lo, s13
	s_cbranch_vccnz .LBB6_168
; %bb.163:                              ;   in Loop: Header=BB6_144 Depth=2
	s_and_saveexec_b32 s13, s28
	s_cbranch_execz .LBB6_167
; %bb.164:                              ;   in Loop: Header=BB6_144 Depth=2
	s_or_b32 s12, s11, s12
	s_delay_alu instid0(SALU_CYCLE_1)
	s_and_saveexec_b32 s28, s12
; %bb.165:                              ;   in Loop: Header=BB6_144 Depth=2
	v_lshrrev_b32_e32 v36, 16, v37
	v_cmp_lt_u16_e64 vcc_lo, 0x7c00, v160
	s_delay_alu instid0(VALU_DEP_2) | instskip(NEXT) | instid1(VALU_DEP_2)
	v_cmp_gt_f16_e64 s12, v37, v36
	s_and_b32 s11, s11, vcc_lo
	s_delay_alu instid0(VALU_DEP_1) | instskip(NEXT) | instid1(VALU_DEP_1)
	v_cndmask_b32_e64 v36, v37, v36, s12
	v_cndmask_b32_e64 v151, v36, 0x7fff, s11
; %bb.166:                              ;   in Loop: Header=BB6_144 Depth=2
	s_or_b32 exec_lo, exec_lo, s28
	s_delay_alu instid0(VALU_DEP_1)
	v_mov_b32_e32 v161, v151
.LBB6_167:                              ;   in Loop: Header=BB6_144 Depth=2
	s_or_b32 exec_lo, exec_lo, s13
	s_delay_alu instid0(VALU_DEP_1)
	v_mov_b32_e32 v36, v161
.LBB6_168:                              ;   in Loop: Header=BB6_144 Depth=2
	v_and_b32_e32 v37, 0x7fff, v48
	v_and_b32_e32 v151, 0x7fff, v49
	v_perm_b32 v160, v49, v48, 0x5040100
	s_mov_b32 s13, -1
	s_and_b32 vcc_lo, exec_lo, s27
	v_cmp_lt_u16_e64 s11, 0x7c00, v37
	v_cmp_gt_u16_e64 s12, 0x7c01, v151
                                        ; implicit-def: $vgpr37
	s_delay_alu instid0(VALU_DEP_1) | instskip(NEXT) | instid1(SALU_CYCLE_1)
	s_and_b32 s28, s11, s12
	s_xor_b32 s28, s28, -1
	s_cbranch_vccz .LBB6_174
; %bb.169:                              ;   in Loop: Header=BB6_144 Depth=2
	v_mov_b32_e32 v37, v49
	s_and_saveexec_b32 s29, s28
	s_cbranch_execz .LBB6_173
; %bb.170:                              ;   in Loop: Header=BB6_144 Depth=2
	v_mov_b32_e32 v37, v48
	s_or_b32 s13, s11, s12
	s_delay_alu instid0(SALU_CYCLE_1)
	s_and_saveexec_b32 vcc_hi, s13
; %bb.171:                              ;   in Loop: Header=BB6_144 Depth=2
	v_lshrrev_b32_e32 v37, 16, v160
	v_cmp_lt_u16_e64 vcc_lo, 0x7c00, v151
	s_delay_alu instid0(VALU_DEP_2) | instskip(NEXT) | instid1(VALU_DEP_1)
	v_cmp_gt_f16_e64 s13, v160, v37
	v_cndmask_b32_e64 v37, v37, v160, s13
	s_delay_alu instid0(VALU_DEP_3)
	s_and_b32 s13, s11, vcc_lo
	s_delay_alu instid0(VALU_DEP_1) | instid1(SALU_CYCLE_1)
	v_cndmask_b32_e64 v37, v37, 0x7fff, s13
; %bb.172:                              ;   in Loop: Header=BB6_144 Depth=2
	s_or_b32 exec_lo, exec_lo, vcc_hi
.LBB6_173:                              ;   in Loop: Header=BB6_144 Depth=2
	s_delay_alu instid0(SALU_CYCLE_1)
	s_or_b32 exec_lo, exec_lo, s29
	s_mov_b32 s13, 0
.LBB6_174:                              ;   in Loop: Header=BB6_144 Depth=2
	s_delay_alu instid0(SALU_CYCLE_1)
	s_and_not1_b32 vcc_lo, exec_lo, s13
	s_cbranch_vccnz .LBB6_180
; %bb.175:                              ;   in Loop: Header=BB6_144 Depth=2
	v_mov_b32_e32 v37, v49
	s_and_saveexec_b32 s13, s28
	s_cbranch_execz .LBB6_179
; %bb.176:                              ;   in Loop: Header=BB6_144 Depth=2
	v_mov_b32_e32 v37, v48
	s_or_b32 s12, s11, s12
	s_delay_alu instid0(SALU_CYCLE_1)
	s_and_saveexec_b32 s28, s12
; %bb.177:                              ;   in Loop: Header=BB6_144 Depth=2
	v_lshrrev_b32_e32 v37, 16, v160
	v_cmp_lt_u16_e64 vcc_lo, 0x7c00, v151
	s_delay_alu instid0(VALU_DEP_2) | instskip(NEXT) | instid1(VALU_DEP_2)
	v_cmp_gt_f16_e64 s12, v160, v37
	s_and_b32 s11, s11, vcc_lo
	s_delay_alu instid0(VALU_DEP_1) | instskip(NEXT) | instid1(VALU_DEP_1)
	v_cndmask_b32_e64 v37, v160, v37, s12
	v_cndmask_b32_e64 v37, v37, 0x7fff, s11
; %bb.178:                              ;   in Loop: Header=BB6_144 Depth=2
	s_or_b32 exec_lo, exec_lo, s28
.LBB6_179:                              ;   in Loop: Header=BB6_144 Depth=2
	s_delay_alu instid0(SALU_CYCLE_1)
	s_or_b32 exec_lo, exec_lo, s13
.LBB6_180:                              ;   in Loop: Header=BB6_144 Depth=2
	v_lshrrev_b32_e32 v151, 16, v48
	v_lshrrev_b32_e32 v161, 16, v49
	v_perm_b32 v49, v49, v48, 0x7060302
	s_mov_b32 s13, -1
	s_and_b32 vcc_lo, exec_lo, s27
	v_and_b32_e32 v162, 0x7fff, v151
	v_and_b32_e32 v160, 0x7fff, v161
                                        ; implicit-def: $vgpr48
	s_delay_alu instid0(VALU_DEP_2) | instskip(NEXT) | instid1(VALU_DEP_2)
	v_cmp_lt_u16_e64 s11, 0x7c00, v162
	v_cmp_gt_u16_e64 s12, 0x7c01, v160
	s_delay_alu instid0(VALU_DEP_1) | instskip(NEXT) | instid1(SALU_CYCLE_1)
	s_and_b32 s28, s11, s12
	s_xor_b32 s28, s28, -1
	s_cbranch_vccz .LBB6_186
; %bb.181:                              ;   in Loop: Header=BB6_144 Depth=2
	v_mov_b32_e32 v48, v161
	s_and_saveexec_b32 s29, s28
	s_cbranch_execz .LBB6_185
; %bb.182:                              ;   in Loop: Header=BB6_144 Depth=2
	v_mov_b32_e32 v48, v151
	s_or_b32 s13, s11, s12
	s_delay_alu instid0(SALU_CYCLE_1)
	s_and_saveexec_b32 vcc_hi, s13
; %bb.183:                              ;   in Loop: Header=BB6_144 Depth=2
	v_lshrrev_b32_e32 v48, 16, v49
	v_cmp_lt_u16_e64 vcc_lo, 0x7c00, v160
	s_delay_alu instid0(VALU_DEP_2) | instskip(NEXT) | instid1(VALU_DEP_1)
	v_cmp_gt_f16_e64 s13, v49, v48
	v_cndmask_b32_e64 v48, v48, v49, s13
	s_delay_alu instid0(VALU_DEP_3)
	s_and_b32 s13, s11, vcc_lo
	s_delay_alu instid0(VALU_DEP_1) | instid1(SALU_CYCLE_1)
	v_cndmask_b32_e64 v48, v48, 0x7fff, s13
; %bb.184:                              ;   in Loop: Header=BB6_144 Depth=2
	s_or_b32 exec_lo, exec_lo, vcc_hi
.LBB6_185:                              ;   in Loop: Header=BB6_144 Depth=2
	s_delay_alu instid0(SALU_CYCLE_1)
	s_or_b32 exec_lo, exec_lo, s29
	s_mov_b32 s13, 0
.LBB6_186:                              ;   in Loop: Header=BB6_144 Depth=2
	s_delay_alu instid0(SALU_CYCLE_1)
	s_and_not1_b32 vcc_lo, exec_lo, s13
	s_cbranch_vccnz .LBB6_192
; %bb.187:                              ;   in Loop: Header=BB6_144 Depth=2
	s_and_saveexec_b32 s13, s28
	s_cbranch_execz .LBB6_191
; %bb.188:                              ;   in Loop: Header=BB6_144 Depth=2
	s_or_b32 s12, s11, s12
	s_delay_alu instid0(SALU_CYCLE_1)
	s_and_saveexec_b32 s28, s12
; %bb.189:                              ;   in Loop: Header=BB6_144 Depth=2
	v_lshrrev_b32_e32 v48, 16, v49
	v_cmp_lt_u16_e64 vcc_lo, 0x7c00, v160
	s_delay_alu instid0(VALU_DEP_2) | instskip(NEXT) | instid1(VALU_DEP_2)
	v_cmp_gt_f16_e64 s12, v49, v48
	s_and_b32 s11, s11, vcc_lo
	s_delay_alu instid0(VALU_DEP_1) | instskip(NEXT) | instid1(VALU_DEP_1)
	v_cndmask_b32_e64 v48, v49, v48, s12
	v_cndmask_b32_e64 v151, v48, 0x7fff, s11
; %bb.190:                              ;   in Loop: Header=BB6_144 Depth=2
	s_or_b32 exec_lo, exec_lo, s28
	s_delay_alu instid0(VALU_DEP_1)
	v_mov_b32_e32 v161, v151
.LBB6_191:                              ;   in Loop: Header=BB6_144 Depth=2
	s_or_b32 exec_lo, exec_lo, s13
	s_delay_alu instid0(VALU_DEP_1)
	v_mov_b32_e32 v48, v161
.LBB6_192:                              ;   in Loop: Header=BB6_144 Depth=2
	v_and_b32_e32 v49, 0x7fff, v50
	v_and_b32_e32 v151, 0x7fff, v38
	v_perm_b32 v160, v38, v50, 0x5040100
	s_mov_b32 s13, -1
	s_and_b32 vcc_lo, exec_lo, s27
	v_cmp_lt_u16_e64 s11, 0x7c00, v49
	v_cmp_gt_u16_e64 s12, 0x7c01, v151
                                        ; implicit-def: $vgpr49
	s_delay_alu instid0(VALU_DEP_1) | instskip(NEXT) | instid1(SALU_CYCLE_1)
	s_and_b32 s28, s11, s12
	s_xor_b32 s28, s28, -1
	s_cbranch_vccz .LBB6_198
; %bb.193:                              ;   in Loop: Header=BB6_144 Depth=2
	v_mov_b32_e32 v49, v38
	s_and_saveexec_b32 s29, s28
	s_cbranch_execz .LBB6_197
; %bb.194:                              ;   in Loop: Header=BB6_144 Depth=2
	v_mov_b32_e32 v49, v50
	s_or_b32 s13, s11, s12
	s_delay_alu instid0(SALU_CYCLE_1)
	s_and_saveexec_b32 vcc_hi, s13
; %bb.195:                              ;   in Loop: Header=BB6_144 Depth=2
	v_lshrrev_b32_e32 v49, 16, v160
	v_cmp_lt_u16_e64 vcc_lo, 0x7c00, v151
	s_delay_alu instid0(VALU_DEP_2) | instskip(NEXT) | instid1(VALU_DEP_1)
	v_cmp_gt_f16_e64 s13, v160, v49
	v_cndmask_b32_e64 v49, v49, v160, s13
	s_delay_alu instid0(VALU_DEP_3)
	s_and_b32 s13, s11, vcc_lo
	s_delay_alu instid0(VALU_DEP_1) | instid1(SALU_CYCLE_1)
	v_cndmask_b32_e64 v49, v49, 0x7fff, s13
; %bb.196:                              ;   in Loop: Header=BB6_144 Depth=2
	s_or_b32 exec_lo, exec_lo, vcc_hi
.LBB6_197:                              ;   in Loop: Header=BB6_144 Depth=2
	s_delay_alu instid0(SALU_CYCLE_1)
	s_or_b32 exec_lo, exec_lo, s29
	s_mov_b32 s13, 0
.LBB6_198:                              ;   in Loop: Header=BB6_144 Depth=2
	s_delay_alu instid0(SALU_CYCLE_1)
	s_and_not1_b32 vcc_lo, exec_lo, s13
	s_cbranch_vccnz .LBB6_204
; %bb.199:                              ;   in Loop: Header=BB6_144 Depth=2
	v_mov_b32_e32 v49, v38
	s_and_saveexec_b32 s13, s28
	s_cbranch_execz .LBB6_203
; %bb.200:                              ;   in Loop: Header=BB6_144 Depth=2
	v_mov_b32_e32 v49, v50
	s_or_b32 s12, s11, s12
	s_delay_alu instid0(SALU_CYCLE_1)
	s_and_saveexec_b32 s28, s12
; %bb.201:                              ;   in Loop: Header=BB6_144 Depth=2
	v_lshrrev_b32_e32 v49, 16, v160
	v_cmp_lt_u16_e64 vcc_lo, 0x7c00, v151
	s_delay_alu instid0(VALU_DEP_2) | instskip(NEXT) | instid1(VALU_DEP_2)
	v_cmp_gt_f16_e64 s12, v160, v49
	s_and_b32 s11, s11, vcc_lo
	s_delay_alu instid0(VALU_DEP_1) | instskip(NEXT) | instid1(VALU_DEP_1)
	v_cndmask_b32_e64 v49, v160, v49, s12
	v_cndmask_b32_e64 v49, v49, 0x7fff, s11
; %bb.202:                              ;   in Loop: Header=BB6_144 Depth=2
	s_or_b32 exec_lo, exec_lo, s28
.LBB6_203:                              ;   in Loop: Header=BB6_144 Depth=2
	s_delay_alu instid0(SALU_CYCLE_1)
	s_or_b32 exec_lo, exec_lo, s13
.LBB6_204:                              ;   in Loop: Header=BB6_144 Depth=2
	v_mov_b32_e32 v162, v50
	v_lshrrev_b32_e32 v161, 16, v38
	s_mov_b32 s13, -1
	s_and_b32 vcc_lo, exec_lo, s27
	s_delay_alu instid0(VALU_DEP_2) | instskip(NEXT) | instid1(VALU_DEP_2)
	v_lshrrev_b32_e32 v151, 16, v162
	v_and_b32_e32 v160, 0x7fff, v161
	v_perm_b32 v38, v38, v162, 0x7060302
	s_delay_alu instid0(VALU_DEP_3) | instskip(NEXT) | instid1(VALU_DEP_3)
	v_and_b32_e32 v50, 0x7fff, v151
	v_cmp_gt_u16_e64 s12, 0x7c01, v160
	s_delay_alu instid0(VALU_DEP_2) | instskip(NEXT) | instid1(VALU_DEP_1)
	v_cmp_lt_u16_e64 s11, 0x7c00, v50
                                        ; implicit-def: $vgpr50
	s_and_b32 s28, s11, s12
	s_delay_alu instid0(SALU_CYCLE_1)
	s_xor_b32 s28, s28, -1
	s_cbranch_vccz .LBB6_210
; %bb.205:                              ;   in Loop: Header=BB6_144 Depth=2
	v_mov_b32_e32 v50, v161
	s_and_saveexec_b32 s29, s28
	s_cbranch_execz .LBB6_209
; %bb.206:                              ;   in Loop: Header=BB6_144 Depth=2
	v_mov_b32_e32 v50, v151
	s_or_b32 s13, s11, s12
	s_delay_alu instid0(SALU_CYCLE_1)
	s_and_saveexec_b32 vcc_hi, s13
; %bb.207:                              ;   in Loop: Header=BB6_144 Depth=2
	v_lshrrev_b32_e32 v50, 16, v38
	v_cmp_lt_u16_e64 vcc_lo, 0x7c00, v160
	s_delay_alu instid0(VALU_DEP_2) | instskip(NEXT) | instid1(VALU_DEP_1)
	v_cmp_gt_f16_e64 s13, v38, v50
	v_cndmask_b32_e64 v50, v50, v38, s13
	s_delay_alu instid0(VALU_DEP_3)
	s_and_b32 s13, s11, vcc_lo
	s_delay_alu instid0(VALU_DEP_1) | instid1(SALU_CYCLE_1)
	v_cndmask_b32_e64 v50, v50, 0x7fff, s13
; %bb.208:                              ;   in Loop: Header=BB6_144 Depth=2
	s_or_b32 exec_lo, exec_lo, vcc_hi
.LBB6_209:                              ;   in Loop: Header=BB6_144 Depth=2
	s_delay_alu instid0(SALU_CYCLE_1)
	s_or_b32 exec_lo, exec_lo, s29
	s_mov_b32 s13, 0
.LBB6_210:                              ;   in Loop: Header=BB6_144 Depth=2
	s_delay_alu instid0(SALU_CYCLE_1)
	s_and_not1_b32 vcc_lo, exec_lo, s13
	s_cbranch_vccnz .LBB6_216
; %bb.211:                              ;   in Loop: Header=BB6_144 Depth=2
	s_and_saveexec_b32 s13, s28
	s_cbranch_execz .LBB6_215
; %bb.212:                              ;   in Loop: Header=BB6_144 Depth=2
	s_or_b32 s12, s11, s12
	s_delay_alu instid0(SALU_CYCLE_1)
	s_and_saveexec_b32 s28, s12
; %bb.213:                              ;   in Loop: Header=BB6_144 Depth=2
	v_lshrrev_b32_e32 v50, 16, v38
	v_cmp_lt_u16_e64 vcc_lo, 0x7c00, v160
	s_delay_alu instid0(VALU_DEP_2) | instskip(NEXT) | instid1(VALU_DEP_2)
	v_cmp_gt_f16_e64 s12, v38, v50
	s_and_b32 s11, s11, vcc_lo
	s_delay_alu instid0(VALU_DEP_1) | instskip(NEXT) | instid1(VALU_DEP_1)
	v_cndmask_b32_e64 v38, v38, v50, s12
	v_cndmask_b32_e64 v151, v38, 0x7fff, s11
; %bb.214:                              ;   in Loop: Header=BB6_144 Depth=2
	s_or_b32 exec_lo, exec_lo, s28
	s_delay_alu instid0(VALU_DEP_1)
	v_mov_b32_e32 v161, v151
.LBB6_215:                              ;   in Loop: Header=BB6_144 Depth=2
	s_or_b32 exec_lo, exec_lo, s13
	s_delay_alu instid0(VALU_DEP_1)
	v_mov_b32_e32 v50, v161
.LBB6_216:                              ;   in Loop: Header=BB6_144 Depth=2
	v_and_b32_e32 v38, 0x7fff, v51
	v_and_b32_e32 v151, 0x7fff, v39
	v_perm_b32 v160, v39, v51, 0x5040100
	s_mov_b32 s13, -1
	s_and_b32 vcc_lo, exec_lo, s27
	v_cmp_lt_u16_e64 s11, 0x7c00, v38
	v_cmp_gt_u16_e64 s12, 0x7c01, v151
                                        ; implicit-def: $vgpr38
	s_delay_alu instid0(VALU_DEP_1) | instskip(NEXT) | instid1(SALU_CYCLE_1)
	s_and_b32 s28, s11, s12
	s_xor_b32 s28, s28, -1
	s_cbranch_vccz .LBB6_222
; %bb.217:                              ;   in Loop: Header=BB6_144 Depth=2
	v_mov_b32_e32 v38, v39
	s_and_saveexec_b32 s29, s28
	s_cbranch_execz .LBB6_221
; %bb.218:                              ;   in Loop: Header=BB6_144 Depth=2
	v_mov_b32_e32 v38, v51
	s_or_b32 s13, s11, s12
	s_delay_alu instid0(SALU_CYCLE_1)
	s_and_saveexec_b32 vcc_hi, s13
; %bb.219:                              ;   in Loop: Header=BB6_144 Depth=2
	v_lshrrev_b32_e32 v38, 16, v160
	v_cmp_lt_u16_e64 vcc_lo, 0x7c00, v151
	s_delay_alu instid0(VALU_DEP_2) | instskip(NEXT) | instid1(VALU_DEP_1)
	v_cmp_gt_f16_e64 s13, v160, v38
	v_cndmask_b32_e64 v38, v38, v160, s13
	s_delay_alu instid0(VALU_DEP_3)
	s_and_b32 s13, s11, vcc_lo
	s_delay_alu instid0(VALU_DEP_1) | instid1(SALU_CYCLE_1)
	v_cndmask_b32_e64 v38, v38, 0x7fff, s13
; %bb.220:                              ;   in Loop: Header=BB6_144 Depth=2
	s_or_b32 exec_lo, exec_lo, vcc_hi
.LBB6_221:                              ;   in Loop: Header=BB6_144 Depth=2
	s_delay_alu instid0(SALU_CYCLE_1)
	s_or_b32 exec_lo, exec_lo, s29
	s_mov_b32 s13, 0
.LBB6_222:                              ;   in Loop: Header=BB6_144 Depth=2
	s_delay_alu instid0(SALU_CYCLE_1)
	s_and_not1_b32 vcc_lo, exec_lo, s13
	s_cbranch_vccnz .LBB6_228
; %bb.223:                              ;   in Loop: Header=BB6_144 Depth=2
	v_mov_b32_e32 v38, v39
	s_and_saveexec_b32 s13, s28
	s_cbranch_execz .LBB6_227
; %bb.224:                              ;   in Loop: Header=BB6_144 Depth=2
	v_mov_b32_e32 v38, v51
	s_or_b32 s12, s11, s12
	s_delay_alu instid0(SALU_CYCLE_1)
	s_and_saveexec_b32 s28, s12
; %bb.225:                              ;   in Loop: Header=BB6_144 Depth=2
	v_lshrrev_b32_e32 v38, 16, v160
	v_cmp_lt_u16_e64 vcc_lo, 0x7c00, v151
	s_delay_alu instid0(VALU_DEP_2) | instskip(NEXT) | instid1(VALU_DEP_2)
	v_cmp_gt_f16_e64 s12, v160, v38
	s_and_b32 s11, s11, vcc_lo
	s_delay_alu instid0(VALU_DEP_1) | instskip(NEXT) | instid1(VALU_DEP_1)
	v_cndmask_b32_e64 v38, v160, v38, s12
	v_cndmask_b32_e64 v38, v38, 0x7fff, s11
; %bb.226:                              ;   in Loop: Header=BB6_144 Depth=2
	s_or_b32 exec_lo, exec_lo, s28
.LBB6_227:                              ;   in Loop: Header=BB6_144 Depth=2
	s_delay_alu instid0(SALU_CYCLE_1)
	s_or_b32 exec_lo, exec_lo, s13
.LBB6_228:                              ;   in Loop: Header=BB6_144 Depth=2
	v_lshrrev_b32_e32 v151, 16, v51
	v_lshrrev_b32_e32 v161, 16, v39
	v_perm_b32 v51, v39, v51, 0x7060302
	s_mov_b32 s13, -1
	s_and_b32 vcc_lo, exec_lo, s27
	v_and_b32_e32 v162, 0x7fff, v151
	v_and_b32_e32 v160, 0x7fff, v161
                                        ; implicit-def: $vgpr39
	s_delay_alu instid0(VALU_DEP_2) | instskip(NEXT) | instid1(VALU_DEP_2)
	v_cmp_lt_u16_e64 s11, 0x7c00, v162
	v_cmp_gt_u16_e64 s12, 0x7c01, v160
	s_delay_alu instid0(VALU_DEP_1) | instskip(NEXT) | instid1(SALU_CYCLE_1)
	s_and_b32 s28, s11, s12
	s_xor_b32 s28, s28, -1
	s_cbranch_vccz .LBB6_234
; %bb.229:                              ;   in Loop: Header=BB6_144 Depth=2
	v_mov_b32_e32 v39, v161
	s_and_saveexec_b32 s29, s28
	s_cbranch_execz .LBB6_233
; %bb.230:                              ;   in Loop: Header=BB6_144 Depth=2
	v_mov_b32_e32 v39, v151
	s_or_b32 s13, s11, s12
	s_delay_alu instid0(SALU_CYCLE_1)
	s_and_saveexec_b32 vcc_hi, s13
; %bb.231:                              ;   in Loop: Header=BB6_144 Depth=2
	v_lshrrev_b32_e32 v39, 16, v51
	v_cmp_lt_u16_e64 vcc_lo, 0x7c00, v160
	s_delay_alu instid0(VALU_DEP_2) | instskip(NEXT) | instid1(VALU_DEP_1)
	v_cmp_gt_f16_e64 s13, v51, v39
	v_cndmask_b32_e64 v39, v39, v51, s13
	s_delay_alu instid0(VALU_DEP_3)
	s_and_b32 s13, s11, vcc_lo
	s_delay_alu instid0(VALU_DEP_1) | instid1(SALU_CYCLE_1)
	v_cndmask_b32_e64 v39, v39, 0x7fff, s13
; %bb.232:                              ;   in Loop: Header=BB6_144 Depth=2
	s_or_b32 exec_lo, exec_lo, vcc_hi
.LBB6_233:                              ;   in Loop: Header=BB6_144 Depth=2
	s_delay_alu instid0(SALU_CYCLE_1)
	s_or_b32 exec_lo, exec_lo, s29
	s_mov_b32 s13, 0
.LBB6_234:                              ;   in Loop: Header=BB6_144 Depth=2
	s_delay_alu instid0(SALU_CYCLE_1)
	s_and_not1_b32 vcc_lo, exec_lo, s13
	s_cbranch_vccnz .LBB6_240
; %bb.235:                              ;   in Loop: Header=BB6_144 Depth=2
	s_and_saveexec_b32 s13, s28
	s_cbranch_execz .LBB6_239
; %bb.236:                              ;   in Loop: Header=BB6_144 Depth=2
	s_or_b32 s12, s11, s12
	s_delay_alu instid0(SALU_CYCLE_1)
	s_and_saveexec_b32 s28, s12
; %bb.237:                              ;   in Loop: Header=BB6_144 Depth=2
	v_lshrrev_b32_e32 v39, 16, v51
	v_cmp_lt_u16_e64 vcc_lo, 0x7c00, v160
	s_delay_alu instid0(VALU_DEP_2) | instskip(NEXT) | instid1(VALU_DEP_2)
	v_cmp_gt_f16_e64 s12, v51, v39
	s_and_b32 s11, s11, vcc_lo
	s_delay_alu instid0(VALU_DEP_1) | instskip(NEXT) | instid1(VALU_DEP_1)
	v_cndmask_b32_e64 v39, v51, v39, s12
	v_cndmask_b32_e64 v151, v39, 0x7fff, s11
; %bb.238:                              ;   in Loop: Header=BB6_144 Depth=2
	s_or_b32 exec_lo, exec_lo, s28
	s_delay_alu instid0(VALU_DEP_1)
	v_mov_b32_e32 v161, v151
.LBB6_239:                              ;   in Loop: Header=BB6_144 Depth=2
	s_or_b32 exec_lo, exec_lo, s13
	s_delay_alu instid0(VALU_DEP_1)
	v_mov_b32_e32 v39, v161
.LBB6_240:                              ;   in Loop: Header=BB6_144 Depth=2
	s_waitcnt vmcnt(5)
	v_and_b32_e32 v51, 0x7fff, v32
	s_waitcnt vmcnt(2)
	v_and_b32_e32 v151, 0x7fff, v26
	v_perm_b32 v160, v26, v32, 0x5040100
	s_mov_b32 s13, -1
	s_and_not1_b32 vcc_lo, exec_lo, s27
	v_cmp_lt_u16_e64 s11, 0x7c00, v51
	v_cmp_gt_u16_e64 s12, 0x7c01, v151
                                        ; implicit-def: $vgpr51
	s_delay_alu instid0(VALU_DEP_1) | instskip(NEXT) | instid1(SALU_CYCLE_1)
	s_and_b32 s28, s11, s12
	s_xor_b32 s28, s28, -1
	s_cbranch_vccnz .LBB6_246
; %bb.241:                              ;   in Loop: Header=BB6_144 Depth=2
	v_mov_b32_e32 v51, v26
	s_and_saveexec_b32 s29, s28
	s_cbranch_execz .LBB6_245
; %bb.242:                              ;   in Loop: Header=BB6_144 Depth=2
	v_mov_b32_e32 v51, v32
	s_or_b32 s13, s11, s12
	s_delay_alu instid0(SALU_CYCLE_1)
	s_and_saveexec_b32 vcc_hi, s13
; %bb.243:                              ;   in Loop: Header=BB6_144 Depth=2
	v_lshrrev_b32_e32 v51, 16, v160
	v_cmp_lt_u16_e64 vcc_lo, 0x7c00, v151
	s_delay_alu instid0(VALU_DEP_2) | instskip(NEXT) | instid1(VALU_DEP_1)
	v_cmp_gt_f16_e64 s13, v160, v51
	v_cndmask_b32_e64 v51, v51, v160, s13
	s_delay_alu instid0(VALU_DEP_3)
	s_and_b32 s13, s11, vcc_lo
	s_delay_alu instid0(VALU_DEP_1) | instid1(SALU_CYCLE_1)
	v_cndmask_b32_e64 v51, v51, 0x7fff, s13
; %bb.244:                              ;   in Loop: Header=BB6_144 Depth=2
	s_or_b32 exec_lo, exec_lo, vcc_hi
.LBB6_245:                              ;   in Loop: Header=BB6_144 Depth=2
	s_delay_alu instid0(SALU_CYCLE_1)
	s_or_b32 exec_lo, exec_lo, s29
	s_mov_b32 s13, 0
.LBB6_246:                              ;   in Loop: Header=BB6_144 Depth=2
	s_delay_alu instid0(SALU_CYCLE_1)
	s_and_not1_b32 vcc_lo, exec_lo, s13
	s_cbranch_vccnz .LBB6_252
; %bb.247:                              ;   in Loop: Header=BB6_144 Depth=2
	v_mov_b32_e32 v51, v26
	s_and_saveexec_b32 s13, s28
	s_cbranch_execz .LBB6_251
; %bb.248:                              ;   in Loop: Header=BB6_144 Depth=2
	v_mov_b32_e32 v51, v32
	s_or_b32 s12, s11, s12
	s_delay_alu instid0(SALU_CYCLE_1)
	s_and_saveexec_b32 s28, s12
; %bb.249:                              ;   in Loop: Header=BB6_144 Depth=2
	v_lshrrev_b32_e32 v51, 16, v160
	v_cmp_lt_u16_e64 vcc_lo, 0x7c00, v151
	s_delay_alu instid0(VALU_DEP_2) | instskip(NEXT) | instid1(VALU_DEP_2)
	v_cmp_gt_f16_e64 s12, v160, v51
	s_and_b32 s11, s11, vcc_lo
	s_delay_alu instid0(VALU_DEP_1) | instskip(NEXT) | instid1(VALU_DEP_1)
	v_cndmask_b32_e64 v51, v160, v51, s12
	v_cndmask_b32_e64 v51, v51, 0x7fff, s11
; %bb.250:                              ;   in Loop: Header=BB6_144 Depth=2
	s_or_b32 exec_lo, exec_lo, s28
.LBB6_251:                              ;   in Loop: Header=BB6_144 Depth=2
	s_delay_alu instid0(SALU_CYCLE_1)
	s_or_b32 exec_lo, exec_lo, s13
.LBB6_252:                              ;   in Loop: Header=BB6_144 Depth=2
	v_mov_b32_e32 v162, v32
	v_lshrrev_b32_e32 v161, 16, v26
	s_mov_b32 s13, -1
	s_and_not1_b32 vcc_lo, exec_lo, s27
	s_delay_alu instid0(VALU_DEP_2) | instskip(NEXT) | instid1(VALU_DEP_2)
	v_lshrrev_b32_e32 v151, 16, v162
	v_and_b32_e32 v160, 0x7fff, v161
	s_delay_alu instid0(VALU_DEP_2) | instskip(NEXT) | instid1(VALU_DEP_2)
	v_and_b32_e32 v32, 0x7fff, v151
	v_cmp_gt_u16_e64 s12, 0x7c01, v160
	s_delay_alu instid0(VALU_DEP_2) | instskip(SKIP_2) | instid1(VALU_DEP_3)
	v_cmp_lt_u16_e64 s11, 0x7c00, v32
	v_dual_mov_b32 v32, v33 :: v_dual_mov_b32 v33, v27
	v_perm_b32 v27, v26, v162, 0x7060302
                                        ; implicit-def: $vgpr26
	s_and_b32 s28, s11, s12
	s_delay_alu instid0(SALU_CYCLE_1)
	s_xor_b32 s28, s28, -1
	s_cbranch_vccnz .LBB6_258
; %bb.253:                              ;   in Loop: Header=BB6_144 Depth=2
	v_mov_b32_e32 v26, v161
	s_and_saveexec_b32 s29, s28
	s_cbranch_execz .LBB6_257
; %bb.254:                              ;   in Loop: Header=BB6_144 Depth=2
	v_mov_b32_e32 v26, v151
	s_or_b32 s13, s11, s12
	s_delay_alu instid0(SALU_CYCLE_1)
	s_and_saveexec_b32 vcc_hi, s13
; %bb.255:                              ;   in Loop: Header=BB6_144 Depth=2
	v_lshrrev_b32_e32 v26, 16, v27
	v_cmp_lt_u16_e64 vcc_lo, 0x7c00, v160
	s_delay_alu instid0(VALU_DEP_2) | instskip(NEXT) | instid1(VALU_DEP_1)
	v_cmp_gt_f16_e64 s13, v27, v26
	v_cndmask_b32_e64 v26, v26, v27, s13
	s_delay_alu instid0(VALU_DEP_3)
	s_and_b32 s13, s11, vcc_lo
	s_delay_alu instid0(VALU_DEP_1) | instid1(SALU_CYCLE_1)
	v_cndmask_b32_e64 v26, v26, 0x7fff, s13
; %bb.256:                              ;   in Loop: Header=BB6_144 Depth=2
	s_or_b32 exec_lo, exec_lo, vcc_hi
.LBB6_257:                              ;   in Loop: Header=BB6_144 Depth=2
	s_delay_alu instid0(SALU_CYCLE_1)
	s_or_b32 exec_lo, exec_lo, s29
	s_mov_b32 s13, 0
.LBB6_258:                              ;   in Loop: Header=BB6_144 Depth=2
	s_delay_alu instid0(SALU_CYCLE_1)
	s_and_not1_b32 vcc_lo, exec_lo, s13
	s_cbranch_vccnz .LBB6_264
; %bb.259:                              ;   in Loop: Header=BB6_144 Depth=2
	s_and_saveexec_b32 s13, s28
	s_cbranch_execz .LBB6_263
; %bb.260:                              ;   in Loop: Header=BB6_144 Depth=2
	s_or_b32 s12, s11, s12
	s_delay_alu instid0(SALU_CYCLE_1)
	s_and_saveexec_b32 s28, s12
; %bb.261:                              ;   in Loop: Header=BB6_144 Depth=2
	v_lshrrev_b32_e32 v26, 16, v27
	v_cmp_lt_u16_e64 vcc_lo, 0x7c00, v160
	s_delay_alu instid0(VALU_DEP_2) | instskip(NEXT) | instid1(VALU_DEP_2)
	v_cmp_gt_f16_e64 s12, v27, v26
	s_and_b32 s11, s11, vcc_lo
	s_delay_alu instid0(VALU_DEP_1) | instskip(NEXT) | instid1(VALU_DEP_1)
	v_cndmask_b32_e64 v26, v27, v26, s12
	v_cndmask_b32_e64 v151, v26, 0x7fff, s11
; %bb.262:                              ;   in Loop: Header=BB6_144 Depth=2
	s_or_b32 exec_lo, exec_lo, s28
	s_delay_alu instid0(VALU_DEP_1)
	v_mov_b32_e32 v161, v151
.LBB6_263:                              ;   in Loop: Header=BB6_144 Depth=2
	s_or_b32 exec_lo, exec_lo, s13
	s_delay_alu instid0(VALU_DEP_1)
	v_mov_b32_e32 v26, v161
.LBB6_264:                              ;   in Loop: Header=BB6_144 Depth=2
	v_and_b32_e32 v27, 0x7fff, v32
	v_and_b32_e32 v151, 0x7fff, v33
	v_perm_b32 v160, v33, v32, 0x5040100
	s_mov_b32 s13, -1
	s_and_not1_b32 vcc_lo, exec_lo, s27
	v_cmp_lt_u16_e64 s11, 0x7c00, v27
	v_cmp_gt_u16_e64 s12, 0x7c01, v151
                                        ; implicit-def: $vgpr27
	s_delay_alu instid0(VALU_DEP_1) | instskip(NEXT) | instid1(SALU_CYCLE_1)
	s_and_b32 s28, s11, s12
	s_xor_b32 s28, s28, -1
	s_cbranch_vccnz .LBB6_270
; %bb.265:                              ;   in Loop: Header=BB6_144 Depth=2
	v_mov_b32_e32 v27, v33
	s_and_saveexec_b32 s29, s28
	s_cbranch_execz .LBB6_269
; %bb.266:                              ;   in Loop: Header=BB6_144 Depth=2
	v_mov_b32_e32 v27, v32
	s_or_b32 s13, s11, s12
	s_delay_alu instid0(SALU_CYCLE_1)
	s_and_saveexec_b32 vcc_hi, s13
; %bb.267:                              ;   in Loop: Header=BB6_144 Depth=2
	v_lshrrev_b32_e32 v27, 16, v160
	v_cmp_lt_u16_e64 vcc_lo, 0x7c00, v151
	s_delay_alu instid0(VALU_DEP_2) | instskip(NEXT) | instid1(VALU_DEP_1)
	v_cmp_gt_f16_e64 s13, v160, v27
	v_cndmask_b32_e64 v27, v27, v160, s13
	s_delay_alu instid0(VALU_DEP_3)
	s_and_b32 s13, s11, vcc_lo
	s_delay_alu instid0(VALU_DEP_1) | instid1(SALU_CYCLE_1)
	v_cndmask_b32_e64 v27, v27, 0x7fff, s13
; %bb.268:                              ;   in Loop: Header=BB6_144 Depth=2
	s_or_b32 exec_lo, exec_lo, vcc_hi
.LBB6_269:                              ;   in Loop: Header=BB6_144 Depth=2
	s_delay_alu instid0(SALU_CYCLE_1)
	s_or_b32 exec_lo, exec_lo, s29
	s_mov_b32 s13, 0
.LBB6_270:                              ;   in Loop: Header=BB6_144 Depth=2
	s_delay_alu instid0(SALU_CYCLE_1)
	s_and_not1_b32 vcc_lo, exec_lo, s13
	s_cbranch_vccnz .LBB6_276
; %bb.271:                              ;   in Loop: Header=BB6_144 Depth=2
	v_mov_b32_e32 v27, v33
	s_and_saveexec_b32 s13, s28
	s_cbranch_execz .LBB6_275
; %bb.272:                              ;   in Loop: Header=BB6_144 Depth=2
	v_mov_b32_e32 v27, v32
	s_or_b32 s12, s11, s12
	s_delay_alu instid0(SALU_CYCLE_1)
	s_and_saveexec_b32 s28, s12
; %bb.273:                              ;   in Loop: Header=BB6_144 Depth=2
	v_lshrrev_b32_e32 v27, 16, v160
	v_cmp_lt_u16_e64 vcc_lo, 0x7c00, v151
	s_delay_alu instid0(VALU_DEP_2) | instskip(NEXT) | instid1(VALU_DEP_2)
	v_cmp_gt_f16_e64 s12, v160, v27
	s_and_b32 s11, s11, vcc_lo
	s_delay_alu instid0(VALU_DEP_1) | instskip(NEXT) | instid1(VALU_DEP_1)
	v_cndmask_b32_e64 v27, v160, v27, s12
	v_cndmask_b32_e64 v27, v27, 0x7fff, s11
; %bb.274:                              ;   in Loop: Header=BB6_144 Depth=2
	s_or_b32 exec_lo, exec_lo, s28
.LBB6_275:                              ;   in Loop: Header=BB6_144 Depth=2
	s_delay_alu instid0(SALU_CYCLE_1)
	s_or_b32 exec_lo, exec_lo, s13
.LBB6_276:                              ;   in Loop: Header=BB6_144 Depth=2
	v_lshrrev_b32_e32 v151, 16, v32
	v_lshrrev_b32_e32 v161, 16, v33
	v_perm_b32 v33, v33, v32, 0x7060302
	s_mov_b32 s13, -1
	s_and_not1_b32 vcc_lo, exec_lo, s27
	v_and_b32_e32 v162, 0x7fff, v151
	v_and_b32_e32 v160, 0x7fff, v161
                                        ; implicit-def: $vgpr32
	s_delay_alu instid0(VALU_DEP_2) | instskip(NEXT) | instid1(VALU_DEP_2)
	v_cmp_lt_u16_e64 s11, 0x7c00, v162
	v_cmp_gt_u16_e64 s12, 0x7c01, v160
	s_delay_alu instid0(VALU_DEP_1) | instskip(NEXT) | instid1(SALU_CYCLE_1)
	s_and_b32 s28, s11, s12
	s_xor_b32 s28, s28, -1
	s_cbranch_vccnz .LBB6_282
; %bb.277:                              ;   in Loop: Header=BB6_144 Depth=2
	v_mov_b32_e32 v32, v161
	s_and_saveexec_b32 s29, s28
	s_cbranch_execz .LBB6_281
; %bb.278:                              ;   in Loop: Header=BB6_144 Depth=2
	v_mov_b32_e32 v32, v151
	s_or_b32 s13, s11, s12
	s_delay_alu instid0(SALU_CYCLE_1)
	s_and_saveexec_b32 vcc_hi, s13
; %bb.279:                              ;   in Loop: Header=BB6_144 Depth=2
	v_lshrrev_b32_e32 v32, 16, v33
	v_cmp_lt_u16_e64 vcc_lo, 0x7c00, v160
	s_delay_alu instid0(VALU_DEP_2) | instskip(NEXT) | instid1(VALU_DEP_1)
	v_cmp_gt_f16_e64 s13, v33, v32
	v_cndmask_b32_e64 v32, v32, v33, s13
	s_delay_alu instid0(VALU_DEP_3)
	s_and_b32 s13, s11, vcc_lo
	s_delay_alu instid0(VALU_DEP_1) | instid1(SALU_CYCLE_1)
	v_cndmask_b32_e64 v32, v32, 0x7fff, s13
; %bb.280:                              ;   in Loop: Header=BB6_144 Depth=2
	s_or_b32 exec_lo, exec_lo, vcc_hi
.LBB6_281:                              ;   in Loop: Header=BB6_144 Depth=2
	s_delay_alu instid0(SALU_CYCLE_1)
	s_or_b32 exec_lo, exec_lo, s29
	s_mov_b32 s13, 0
.LBB6_282:                              ;   in Loop: Header=BB6_144 Depth=2
	s_delay_alu instid0(SALU_CYCLE_1)
	s_and_not1_b32 vcc_lo, exec_lo, s13
	s_cbranch_vccnz .LBB6_288
; %bb.283:                              ;   in Loop: Header=BB6_144 Depth=2
	s_and_saveexec_b32 s13, s28
	s_cbranch_execz .LBB6_287
; %bb.284:                              ;   in Loop: Header=BB6_144 Depth=2
	s_or_b32 s12, s11, s12
	s_delay_alu instid0(SALU_CYCLE_1)
	s_and_saveexec_b32 s28, s12
; %bb.285:                              ;   in Loop: Header=BB6_144 Depth=2
	v_lshrrev_b32_e32 v32, 16, v33
	v_cmp_lt_u16_e64 vcc_lo, 0x7c00, v160
	s_delay_alu instid0(VALU_DEP_2) | instskip(NEXT) | instid1(VALU_DEP_2)
	v_cmp_gt_f16_e64 s12, v33, v32
	s_and_b32 s11, s11, vcc_lo
	s_delay_alu instid0(VALU_DEP_1) | instskip(NEXT) | instid1(VALU_DEP_1)
	v_cndmask_b32_e64 v32, v33, v32, s12
	v_cndmask_b32_e64 v151, v32, 0x7fff, s11
; %bb.286:                              ;   in Loop: Header=BB6_144 Depth=2
	s_or_b32 exec_lo, exec_lo, s28
	s_delay_alu instid0(VALU_DEP_1)
	v_mov_b32_e32 v161, v151
.LBB6_287:                              ;   in Loop: Header=BB6_144 Depth=2
	s_or_b32 exec_lo, exec_lo, s13
	s_delay_alu instid0(VALU_DEP_1)
	v_mov_b32_e32 v32, v161
.LBB6_288:                              ;   in Loop: Header=BB6_144 Depth=2
	v_and_b32_e32 v33, 0x7fff, v34
	v_and_b32_e32 v151, 0x7fff, v28
	v_perm_b32 v160, v28, v34, 0x5040100
	s_mov_b32 s13, -1
	s_and_not1_b32 vcc_lo, exec_lo, s27
	v_cmp_lt_u16_e64 s11, 0x7c00, v33
	v_cmp_gt_u16_e64 s12, 0x7c01, v151
                                        ; implicit-def: $vgpr33
	s_delay_alu instid0(VALU_DEP_1) | instskip(NEXT) | instid1(SALU_CYCLE_1)
	s_and_b32 s28, s11, s12
	s_xor_b32 s28, s28, -1
	s_cbranch_vccnz .LBB6_294
; %bb.289:                              ;   in Loop: Header=BB6_144 Depth=2
	v_mov_b32_e32 v33, v28
	s_and_saveexec_b32 s29, s28
	s_cbranch_execz .LBB6_293
; %bb.290:                              ;   in Loop: Header=BB6_144 Depth=2
	v_mov_b32_e32 v33, v34
	s_or_b32 s13, s11, s12
	s_delay_alu instid0(SALU_CYCLE_1)
	s_and_saveexec_b32 vcc_hi, s13
; %bb.291:                              ;   in Loop: Header=BB6_144 Depth=2
	v_lshrrev_b32_e32 v33, 16, v160
	v_cmp_lt_u16_e64 vcc_lo, 0x7c00, v151
	s_delay_alu instid0(VALU_DEP_2) | instskip(NEXT) | instid1(VALU_DEP_1)
	v_cmp_gt_f16_e64 s13, v160, v33
	v_cndmask_b32_e64 v33, v33, v160, s13
	s_delay_alu instid0(VALU_DEP_3)
	s_and_b32 s13, s11, vcc_lo
	s_delay_alu instid0(VALU_DEP_1) | instid1(SALU_CYCLE_1)
	v_cndmask_b32_e64 v33, v33, 0x7fff, s13
; %bb.292:                              ;   in Loop: Header=BB6_144 Depth=2
	s_or_b32 exec_lo, exec_lo, vcc_hi
.LBB6_293:                              ;   in Loop: Header=BB6_144 Depth=2
	s_delay_alu instid0(SALU_CYCLE_1)
	s_or_b32 exec_lo, exec_lo, s29
	s_mov_b32 s13, 0
.LBB6_294:                              ;   in Loop: Header=BB6_144 Depth=2
	s_delay_alu instid0(SALU_CYCLE_1)
	s_and_not1_b32 vcc_lo, exec_lo, s13
	s_cbranch_vccnz .LBB6_300
; %bb.295:                              ;   in Loop: Header=BB6_144 Depth=2
	v_mov_b32_e32 v33, v28
	s_and_saveexec_b32 s13, s28
	s_cbranch_execz .LBB6_299
; %bb.296:                              ;   in Loop: Header=BB6_144 Depth=2
	v_mov_b32_e32 v33, v34
	s_or_b32 s12, s11, s12
	s_delay_alu instid0(SALU_CYCLE_1)
	s_and_saveexec_b32 s28, s12
; %bb.297:                              ;   in Loop: Header=BB6_144 Depth=2
	v_lshrrev_b32_e32 v33, 16, v160
	v_cmp_lt_u16_e64 vcc_lo, 0x7c00, v151
	s_delay_alu instid0(VALU_DEP_2) | instskip(NEXT) | instid1(VALU_DEP_2)
	v_cmp_gt_f16_e64 s12, v160, v33
	s_and_b32 s11, s11, vcc_lo
	s_delay_alu instid0(VALU_DEP_1) | instskip(NEXT) | instid1(VALU_DEP_1)
	v_cndmask_b32_e64 v33, v160, v33, s12
	v_cndmask_b32_e64 v33, v33, 0x7fff, s11
; %bb.298:                              ;   in Loop: Header=BB6_144 Depth=2
	s_or_b32 exec_lo, exec_lo, s28
.LBB6_299:                              ;   in Loop: Header=BB6_144 Depth=2
	s_delay_alu instid0(SALU_CYCLE_1)
	s_or_b32 exec_lo, exec_lo, s13
.LBB6_300:                              ;   in Loop: Header=BB6_144 Depth=2
	v_mov_b32_e32 v161, v34
	v_lshrrev_b32_e32 v160, 16, v28
	s_mov_b32 s13, -1
	s_and_not1_b32 vcc_lo, exec_lo, s27
	s_delay_alu instid0(VALU_DEP_2) | instskip(NEXT) | instid1(VALU_DEP_2)
	v_lshrrev_b32_e32 v34, 16, v161
	v_and_b32_e32 v151, 0x7fff, v160
	s_delay_alu instid0(VALU_DEP_2) | instskip(NEXT) | instid1(VALU_DEP_2)
	v_and_b32_e32 v162, 0x7fff, v34
	v_cmp_gt_u16_e64 s12, 0x7c01, v151
	v_perm_b32 v161, v28, v161, 0x7060302
                                        ; implicit-def: $vgpr28
	s_delay_alu instid0(VALU_DEP_3) | instskip(NEXT) | instid1(VALU_DEP_1)
	v_cmp_lt_u16_e64 s11, 0x7c00, v162
	s_and_b32 s28, s11, s12
	s_delay_alu instid0(SALU_CYCLE_1)
	s_xor_b32 s28, s28, -1
	s_cbranch_vccnz .LBB6_306
; %bb.301:                              ;   in Loop: Header=BB6_144 Depth=2
	v_mov_b32_e32 v28, v160
	s_and_saveexec_b32 s29, s28
	s_cbranch_execz .LBB6_305
; %bb.302:                              ;   in Loop: Header=BB6_144 Depth=2
	v_mov_b32_e32 v28, v34
	s_or_b32 s13, s11, s12
	s_delay_alu instid0(SALU_CYCLE_1)
	s_and_saveexec_b32 vcc_hi, s13
; %bb.303:                              ;   in Loop: Header=BB6_144 Depth=2
	v_lshrrev_b32_e32 v28, 16, v161
	v_cmp_lt_u16_e64 vcc_lo, 0x7c00, v151
	s_delay_alu instid0(VALU_DEP_2) | instskip(NEXT) | instid1(VALU_DEP_1)
	v_cmp_gt_f16_e64 s13, v161, v28
	v_cndmask_b32_e64 v28, v28, v161, s13
	s_delay_alu instid0(VALU_DEP_3)
	s_and_b32 s13, s11, vcc_lo
	s_delay_alu instid0(VALU_DEP_1) | instid1(SALU_CYCLE_1)
	v_cndmask_b32_e64 v28, v28, 0x7fff, s13
; %bb.304:                              ;   in Loop: Header=BB6_144 Depth=2
	s_or_b32 exec_lo, exec_lo, vcc_hi
.LBB6_305:                              ;   in Loop: Header=BB6_144 Depth=2
	s_delay_alu instid0(SALU_CYCLE_1)
	s_or_b32 exec_lo, exec_lo, s29
	s_mov_b32 s13, 0
.LBB6_306:                              ;   in Loop: Header=BB6_144 Depth=2
	s_delay_alu instid0(SALU_CYCLE_1)
	s_and_not1_b32 vcc_lo, exec_lo, s13
	s_cbranch_vccnz .LBB6_312
; %bb.307:                              ;   in Loop: Header=BB6_144 Depth=2
	s_and_saveexec_b32 s13, s28
	s_cbranch_execz .LBB6_311
; %bb.308:                              ;   in Loop: Header=BB6_144 Depth=2
	s_or_b32 s12, s11, s12
	s_delay_alu instid0(SALU_CYCLE_1)
	s_and_saveexec_b32 s28, s12
; %bb.309:                              ;   in Loop: Header=BB6_144 Depth=2
	v_lshrrev_b32_e32 v28, 16, v161
	v_cmp_lt_u16_e64 vcc_lo, 0x7c00, v151
	s_delay_alu instid0(VALU_DEP_2) | instskip(NEXT) | instid1(VALU_DEP_2)
	v_cmp_gt_f16_e64 s12, v161, v28
	s_and_b32 s11, s11, vcc_lo
	s_delay_alu instid0(VALU_DEP_1) | instskip(NEXT) | instid1(VALU_DEP_1)
	v_cndmask_b32_e64 v28, v161, v28, s12
	v_cndmask_b32_e64 v34, v28, 0x7fff, s11
; %bb.310:                              ;   in Loop: Header=BB6_144 Depth=2
	s_or_b32 exec_lo, exec_lo, s28
	s_delay_alu instid0(VALU_DEP_1)
	v_mov_b32_e32 v160, v34
.LBB6_311:                              ;   in Loop: Header=BB6_144 Depth=2
	s_or_b32 exec_lo, exec_lo, s13
	s_delay_alu instid0(VALU_DEP_1)
	v_mov_b32_e32 v28, v160
.LBB6_312:                              ;   in Loop: Header=BB6_144 Depth=2
	v_and_b32_e32 v34, 0x7fff, v35
	v_and_b32_e32 v151, 0x7fff, v29
	v_perm_b32 v160, v29, v35, 0x5040100
	s_mov_b32 s13, -1
	s_and_not1_b32 vcc_lo, exec_lo, s27
	v_cmp_lt_u16_e64 s11, 0x7c00, v34
	v_cmp_gt_u16_e64 s12, 0x7c01, v151
                                        ; implicit-def: $vgpr34
	s_delay_alu instid0(VALU_DEP_1) | instskip(NEXT) | instid1(SALU_CYCLE_1)
	s_and_b32 s28, s11, s12
	s_xor_b32 s28, s28, -1
	s_cbranch_vccnz .LBB6_318
; %bb.313:                              ;   in Loop: Header=BB6_144 Depth=2
	v_mov_b32_e32 v34, v29
	s_and_saveexec_b32 s29, s28
	s_cbranch_execz .LBB6_317
; %bb.314:                              ;   in Loop: Header=BB6_144 Depth=2
	v_mov_b32_e32 v34, v35
	s_or_b32 s13, s11, s12
	s_delay_alu instid0(SALU_CYCLE_1)
	s_and_saveexec_b32 vcc_hi, s13
; %bb.315:                              ;   in Loop: Header=BB6_144 Depth=2
	v_lshrrev_b32_e32 v34, 16, v160
	v_cmp_lt_u16_e64 vcc_lo, 0x7c00, v151
	s_delay_alu instid0(VALU_DEP_2) | instskip(NEXT) | instid1(VALU_DEP_1)
	v_cmp_gt_f16_e64 s13, v160, v34
	v_cndmask_b32_e64 v34, v34, v160, s13
	s_delay_alu instid0(VALU_DEP_3)
	s_and_b32 s13, s11, vcc_lo
	s_delay_alu instid0(VALU_DEP_1) | instid1(SALU_CYCLE_1)
	v_cndmask_b32_e64 v34, v34, 0x7fff, s13
; %bb.316:                              ;   in Loop: Header=BB6_144 Depth=2
	s_or_b32 exec_lo, exec_lo, vcc_hi
.LBB6_317:                              ;   in Loop: Header=BB6_144 Depth=2
	s_delay_alu instid0(SALU_CYCLE_1)
	s_or_b32 exec_lo, exec_lo, s29
	s_mov_b32 s13, 0
.LBB6_318:                              ;   in Loop: Header=BB6_144 Depth=2
	s_delay_alu instid0(SALU_CYCLE_1)
	s_and_not1_b32 vcc_lo, exec_lo, s13
	s_cbranch_vccnz .LBB6_324
; %bb.319:                              ;   in Loop: Header=BB6_144 Depth=2
	v_mov_b32_e32 v34, v29
	s_and_saveexec_b32 s13, s28
	s_cbranch_execz .LBB6_323
; %bb.320:                              ;   in Loop: Header=BB6_144 Depth=2
	v_mov_b32_e32 v34, v35
	s_or_b32 s12, s11, s12
	s_delay_alu instid0(SALU_CYCLE_1)
	s_and_saveexec_b32 s28, s12
; %bb.321:                              ;   in Loop: Header=BB6_144 Depth=2
	v_lshrrev_b32_e32 v34, 16, v160
	v_cmp_lt_u16_e64 vcc_lo, 0x7c00, v151
	s_delay_alu instid0(VALU_DEP_2) | instskip(NEXT) | instid1(VALU_DEP_2)
	v_cmp_gt_f16_e64 s12, v160, v34
	s_and_b32 s11, s11, vcc_lo
	s_delay_alu instid0(VALU_DEP_1) | instskip(NEXT) | instid1(VALU_DEP_1)
	v_cndmask_b32_e64 v34, v160, v34, s12
	v_cndmask_b32_e64 v34, v34, 0x7fff, s11
; %bb.322:                              ;   in Loop: Header=BB6_144 Depth=2
	s_or_b32 exec_lo, exec_lo, s28
.LBB6_323:                              ;   in Loop: Header=BB6_144 Depth=2
	s_delay_alu instid0(SALU_CYCLE_1)
	s_or_b32 exec_lo, exec_lo, s13
.LBB6_324:                              ;   in Loop: Header=BB6_144 Depth=2
	v_lshrrev_b32_e32 v151, 16, v35
	v_lshrrev_b32_e32 v161, 16, v29
	v_perm_b32 v35, v29, v35, 0x7060302
	s_mov_b32 s13, -1
	s_and_not1_b32 vcc_lo, exec_lo, s27
	v_and_b32_e32 v162, 0x7fff, v151
	v_and_b32_e32 v160, 0x7fff, v161
                                        ; implicit-def: $vgpr29
	s_delay_alu instid0(VALU_DEP_2) | instskip(NEXT) | instid1(VALU_DEP_2)
	v_cmp_lt_u16_e64 s11, 0x7c00, v162
	v_cmp_gt_u16_e64 s12, 0x7c01, v160
	s_delay_alu instid0(VALU_DEP_1) | instskip(NEXT) | instid1(SALU_CYCLE_1)
	s_and_b32 s28, s11, s12
	s_xor_b32 s28, s28, -1
	s_cbranch_vccnz .LBB6_330
; %bb.325:                              ;   in Loop: Header=BB6_144 Depth=2
	v_mov_b32_e32 v29, v161
	s_and_saveexec_b32 s29, s28
	s_cbranch_execz .LBB6_329
; %bb.326:                              ;   in Loop: Header=BB6_144 Depth=2
	v_mov_b32_e32 v29, v151
	s_or_b32 s13, s11, s12
	s_delay_alu instid0(SALU_CYCLE_1)
	s_and_saveexec_b32 vcc_hi, s13
; %bb.327:                              ;   in Loop: Header=BB6_144 Depth=2
	v_lshrrev_b32_e32 v29, 16, v35
	v_cmp_lt_u16_e64 vcc_lo, 0x7c00, v160
	s_delay_alu instid0(VALU_DEP_2) | instskip(NEXT) | instid1(VALU_DEP_1)
	v_cmp_gt_f16_e64 s13, v35, v29
	v_cndmask_b32_e64 v29, v29, v35, s13
	s_delay_alu instid0(VALU_DEP_3)
	s_and_b32 s13, s11, vcc_lo
	s_delay_alu instid0(VALU_DEP_1) | instid1(SALU_CYCLE_1)
	v_cndmask_b32_e64 v29, v29, 0x7fff, s13
; %bb.328:                              ;   in Loop: Header=BB6_144 Depth=2
	s_or_b32 exec_lo, exec_lo, vcc_hi
.LBB6_329:                              ;   in Loop: Header=BB6_144 Depth=2
	s_delay_alu instid0(SALU_CYCLE_1)
	s_or_b32 exec_lo, exec_lo, s29
	s_mov_b32 s13, 0
.LBB6_330:                              ;   in Loop: Header=BB6_144 Depth=2
	s_delay_alu instid0(SALU_CYCLE_1)
	s_and_not1_b32 vcc_lo, exec_lo, s13
	s_cbranch_vccnz .LBB6_336
; %bb.331:                              ;   in Loop: Header=BB6_144 Depth=2
	s_and_saveexec_b32 s13, s28
	s_cbranch_execz .LBB6_335
; %bb.332:                              ;   in Loop: Header=BB6_144 Depth=2
	s_or_b32 s12, s11, s12
	s_delay_alu instid0(SALU_CYCLE_1)
	s_and_saveexec_b32 s28, s12
; %bb.333:                              ;   in Loop: Header=BB6_144 Depth=2
	v_lshrrev_b32_e32 v29, 16, v35
	v_cmp_lt_u16_e64 vcc_lo, 0x7c00, v160
	s_delay_alu instid0(VALU_DEP_2) | instskip(NEXT) | instid1(VALU_DEP_2)
	v_cmp_gt_f16_e64 s12, v35, v29
	s_and_b32 s11, s11, vcc_lo
	s_delay_alu instid0(VALU_DEP_1) | instskip(NEXT) | instid1(VALU_DEP_1)
	v_cndmask_b32_e64 v29, v35, v29, s12
	v_cndmask_b32_e64 v151, v29, 0x7fff, s11
; %bb.334:                              ;   in Loop: Header=BB6_144 Depth=2
	s_or_b32 exec_lo, exec_lo, s28
	s_delay_alu instid0(VALU_DEP_1)
	v_mov_b32_e32 v161, v151
.LBB6_335:                              ;   in Loop: Header=BB6_144 Depth=2
	s_or_b32 exec_lo, exec_lo, s13
	s_delay_alu instid0(VALU_DEP_1)
	v_mov_b32_e32 v29, v161
.LBB6_336:                              ;   in Loop: Header=BB6_144 Depth=2
	v_and_b32_e32 v35, 0x7fff, v22
	s_waitcnt vmcnt(1)
	v_and_b32_e32 v151, 0x7fff, v18
	v_perm_b32 v160, v18, v22, 0x5040100
	s_mov_b32 s13, -1
	s_and_not1_b32 vcc_lo, exec_lo, s27
	v_cmp_lt_u16_e64 s11, 0x7c00, v35
	v_cmp_gt_u16_e64 s12, 0x7c01, v151
                                        ; implicit-def: $vgpr35
	s_delay_alu instid0(VALU_DEP_1) | instskip(NEXT) | instid1(SALU_CYCLE_1)
	s_and_b32 s28, s11, s12
	s_xor_b32 s28, s28, -1
	s_cbranch_vccnz .LBB6_342
; %bb.337:                              ;   in Loop: Header=BB6_144 Depth=2
	v_mov_b32_e32 v35, v18
	s_and_saveexec_b32 s29, s28
	s_cbranch_execz .LBB6_341
; %bb.338:                              ;   in Loop: Header=BB6_144 Depth=2
	v_mov_b32_e32 v35, v22
	s_or_b32 s13, s11, s12
	s_delay_alu instid0(SALU_CYCLE_1)
	s_and_saveexec_b32 vcc_hi, s13
; %bb.339:                              ;   in Loop: Header=BB6_144 Depth=2
	v_lshrrev_b32_e32 v35, 16, v160
	v_cmp_lt_u16_e64 vcc_lo, 0x7c00, v151
	s_delay_alu instid0(VALU_DEP_2) | instskip(NEXT) | instid1(VALU_DEP_1)
	v_cmp_gt_f16_e64 s13, v160, v35
	v_cndmask_b32_e64 v35, v35, v160, s13
	s_delay_alu instid0(VALU_DEP_3)
	s_and_b32 s13, s11, vcc_lo
	s_delay_alu instid0(VALU_DEP_1) | instid1(SALU_CYCLE_1)
	v_cndmask_b32_e64 v35, v35, 0x7fff, s13
; %bb.340:                              ;   in Loop: Header=BB6_144 Depth=2
	s_or_b32 exec_lo, exec_lo, vcc_hi
.LBB6_341:                              ;   in Loop: Header=BB6_144 Depth=2
	s_delay_alu instid0(SALU_CYCLE_1)
	s_or_b32 exec_lo, exec_lo, s29
	s_mov_b32 s13, 0
.LBB6_342:                              ;   in Loop: Header=BB6_144 Depth=2
	s_delay_alu instid0(SALU_CYCLE_1)
	s_and_not1_b32 vcc_lo, exec_lo, s13
	s_cbranch_vccnz .LBB6_348
; %bb.343:                              ;   in Loop: Header=BB6_144 Depth=2
	v_mov_b32_e32 v35, v18
	s_and_saveexec_b32 s13, s28
	s_cbranch_execz .LBB6_347
; %bb.344:                              ;   in Loop: Header=BB6_144 Depth=2
	v_mov_b32_e32 v35, v22
	s_or_b32 s12, s11, s12
	s_delay_alu instid0(SALU_CYCLE_1)
	s_and_saveexec_b32 s28, s12
; %bb.345:                              ;   in Loop: Header=BB6_144 Depth=2
	v_lshrrev_b32_e32 v35, 16, v160
	v_cmp_lt_u16_e64 vcc_lo, 0x7c00, v151
	s_delay_alu instid0(VALU_DEP_2) | instskip(NEXT) | instid1(VALU_DEP_2)
	v_cmp_gt_f16_e64 s12, v160, v35
	s_and_b32 s11, s11, vcc_lo
	s_delay_alu instid0(VALU_DEP_1) | instskip(NEXT) | instid1(VALU_DEP_1)
	v_cndmask_b32_e64 v35, v160, v35, s12
	v_cndmask_b32_e64 v35, v35, 0x7fff, s11
; %bb.346:                              ;   in Loop: Header=BB6_144 Depth=2
	s_or_b32 exec_lo, exec_lo, s28
.LBB6_347:                              ;   in Loop: Header=BB6_144 Depth=2
	s_delay_alu instid0(SALU_CYCLE_1)
	s_or_b32 exec_lo, exec_lo, s13
.LBB6_348:                              ;   in Loop: Header=BB6_144 Depth=2
	v_mov_b32_e32 v162, v22
	v_lshrrev_b32_e32 v161, 16, v18
	s_mov_b32 s13, -1
	s_and_not1_b32 vcc_lo, exec_lo, s27
	s_delay_alu instid0(VALU_DEP_2) | instskip(NEXT) | instid1(VALU_DEP_2)
	v_lshrrev_b32_e32 v151, 16, v162
	v_and_b32_e32 v160, 0x7fff, v161
	s_delay_alu instid0(VALU_DEP_2) | instskip(NEXT) | instid1(VALU_DEP_2)
	v_and_b32_e32 v22, 0x7fff, v151
	v_cmp_gt_u16_e64 s12, 0x7c01, v160
	s_delay_alu instid0(VALU_DEP_2) | instskip(SKIP_3) | instid1(VALU_DEP_4)
	v_cmp_lt_u16_e64 s11, 0x7c00, v22
	v_mov_b32_e32 v22, v23
	v_mov_b32_e32 v23, v19
	v_perm_b32 v19, v18, v162, 0x7060302
                                        ; implicit-def: $vgpr18
	s_and_b32 s28, s11, s12
	s_delay_alu instid0(SALU_CYCLE_1)
	s_xor_b32 s28, s28, -1
	s_cbranch_vccnz .LBB6_354
; %bb.349:                              ;   in Loop: Header=BB6_144 Depth=2
	v_mov_b32_e32 v18, v161
	s_and_saveexec_b32 s29, s28
	s_cbranch_execz .LBB6_353
; %bb.350:                              ;   in Loop: Header=BB6_144 Depth=2
	v_mov_b32_e32 v18, v151
	s_or_b32 s13, s11, s12
	s_delay_alu instid0(SALU_CYCLE_1)
	s_and_saveexec_b32 vcc_hi, s13
; %bb.351:                              ;   in Loop: Header=BB6_144 Depth=2
	v_lshrrev_b32_e32 v18, 16, v19
	v_cmp_lt_u16_e64 vcc_lo, 0x7c00, v160
	s_delay_alu instid0(VALU_DEP_2) | instskip(NEXT) | instid1(VALU_DEP_1)
	v_cmp_gt_f16_e64 s13, v19, v18
	v_cndmask_b32_e64 v18, v18, v19, s13
	s_delay_alu instid0(VALU_DEP_3)
	s_and_b32 s13, s11, vcc_lo
	s_delay_alu instid0(VALU_DEP_1) | instid1(SALU_CYCLE_1)
	v_cndmask_b32_e64 v18, v18, 0x7fff, s13
; %bb.352:                              ;   in Loop: Header=BB6_144 Depth=2
	s_or_b32 exec_lo, exec_lo, vcc_hi
.LBB6_353:                              ;   in Loop: Header=BB6_144 Depth=2
	s_delay_alu instid0(SALU_CYCLE_1)
	s_or_b32 exec_lo, exec_lo, s29
	s_mov_b32 s13, 0
.LBB6_354:                              ;   in Loop: Header=BB6_144 Depth=2
	s_delay_alu instid0(SALU_CYCLE_1)
	s_and_not1_b32 vcc_lo, exec_lo, s13
	s_cbranch_vccnz .LBB6_360
; %bb.355:                              ;   in Loop: Header=BB6_144 Depth=2
	s_and_saveexec_b32 s13, s28
	s_cbranch_execz .LBB6_359
; %bb.356:                              ;   in Loop: Header=BB6_144 Depth=2
	s_or_b32 s12, s11, s12
	s_delay_alu instid0(SALU_CYCLE_1)
	s_and_saveexec_b32 s28, s12
; %bb.357:                              ;   in Loop: Header=BB6_144 Depth=2
	v_lshrrev_b32_e32 v18, 16, v19
	v_cmp_lt_u16_e64 vcc_lo, 0x7c00, v160
	s_delay_alu instid0(VALU_DEP_2) | instskip(NEXT) | instid1(VALU_DEP_2)
	v_cmp_gt_f16_e64 s12, v19, v18
	s_and_b32 s11, s11, vcc_lo
	s_delay_alu instid0(VALU_DEP_1) | instskip(NEXT) | instid1(VALU_DEP_1)
	v_cndmask_b32_e64 v18, v19, v18, s12
	v_cndmask_b32_e64 v151, v18, 0x7fff, s11
; %bb.358:                              ;   in Loop: Header=BB6_144 Depth=2
	s_or_b32 exec_lo, exec_lo, s28
	s_delay_alu instid0(VALU_DEP_1)
	v_mov_b32_e32 v161, v151
.LBB6_359:                              ;   in Loop: Header=BB6_144 Depth=2
	s_or_b32 exec_lo, exec_lo, s13
	s_delay_alu instid0(VALU_DEP_1)
	v_mov_b32_e32 v18, v161
.LBB6_360:                              ;   in Loop: Header=BB6_144 Depth=2
	v_and_b32_e32 v19, 0x7fff, v22
	v_and_b32_e32 v151, 0x7fff, v23
	v_perm_b32 v160, v23, v22, 0x5040100
	s_mov_b32 s13, -1
	s_and_not1_b32 vcc_lo, exec_lo, s27
	v_cmp_lt_u16_e64 s11, 0x7c00, v19
	v_cmp_gt_u16_e64 s12, 0x7c01, v151
                                        ; implicit-def: $vgpr19
	s_delay_alu instid0(VALU_DEP_1) | instskip(NEXT) | instid1(SALU_CYCLE_1)
	s_and_b32 s28, s11, s12
	s_xor_b32 s28, s28, -1
	s_cbranch_vccnz .LBB6_366
; %bb.361:                              ;   in Loop: Header=BB6_144 Depth=2
	v_mov_b32_e32 v19, v23
	s_and_saveexec_b32 s29, s28
	s_cbranch_execz .LBB6_365
; %bb.362:                              ;   in Loop: Header=BB6_144 Depth=2
	v_mov_b32_e32 v19, v22
	s_or_b32 s13, s11, s12
	s_delay_alu instid0(SALU_CYCLE_1)
	s_and_saveexec_b32 vcc_hi, s13
; %bb.363:                              ;   in Loop: Header=BB6_144 Depth=2
	v_lshrrev_b32_e32 v19, 16, v160
	v_cmp_lt_u16_e64 vcc_lo, 0x7c00, v151
	s_delay_alu instid0(VALU_DEP_2) | instskip(NEXT) | instid1(VALU_DEP_1)
	v_cmp_gt_f16_e64 s13, v160, v19
	v_cndmask_b32_e64 v19, v19, v160, s13
	s_delay_alu instid0(VALU_DEP_3)
	s_and_b32 s13, s11, vcc_lo
	s_delay_alu instid0(VALU_DEP_1) | instid1(SALU_CYCLE_1)
	v_cndmask_b32_e64 v19, v19, 0x7fff, s13
; %bb.364:                              ;   in Loop: Header=BB6_144 Depth=2
	s_or_b32 exec_lo, exec_lo, vcc_hi
.LBB6_365:                              ;   in Loop: Header=BB6_144 Depth=2
	s_delay_alu instid0(SALU_CYCLE_1)
	s_or_b32 exec_lo, exec_lo, s29
	s_mov_b32 s13, 0
.LBB6_366:                              ;   in Loop: Header=BB6_144 Depth=2
	s_delay_alu instid0(SALU_CYCLE_1)
	s_and_not1_b32 vcc_lo, exec_lo, s13
	s_cbranch_vccnz .LBB6_372
; %bb.367:                              ;   in Loop: Header=BB6_144 Depth=2
	v_mov_b32_e32 v19, v23
	s_and_saveexec_b32 s13, s28
	s_cbranch_execz .LBB6_371
; %bb.368:                              ;   in Loop: Header=BB6_144 Depth=2
	v_mov_b32_e32 v19, v22
	s_or_b32 s12, s11, s12
	s_delay_alu instid0(SALU_CYCLE_1)
	s_and_saveexec_b32 s28, s12
; %bb.369:                              ;   in Loop: Header=BB6_144 Depth=2
	v_lshrrev_b32_e32 v19, 16, v160
	v_cmp_lt_u16_e64 vcc_lo, 0x7c00, v151
	s_delay_alu instid0(VALU_DEP_2) | instskip(NEXT) | instid1(VALU_DEP_2)
	v_cmp_gt_f16_e64 s12, v160, v19
	s_and_b32 s11, s11, vcc_lo
	s_delay_alu instid0(VALU_DEP_1) | instskip(NEXT) | instid1(VALU_DEP_1)
	v_cndmask_b32_e64 v19, v160, v19, s12
	v_cndmask_b32_e64 v19, v19, 0x7fff, s11
; %bb.370:                              ;   in Loop: Header=BB6_144 Depth=2
	s_or_b32 exec_lo, exec_lo, s28
.LBB6_371:                              ;   in Loop: Header=BB6_144 Depth=2
	s_delay_alu instid0(SALU_CYCLE_1)
	s_or_b32 exec_lo, exec_lo, s13
.LBB6_372:                              ;   in Loop: Header=BB6_144 Depth=2
	v_lshrrev_b32_e32 v151, 16, v22
	v_lshrrev_b32_e32 v161, 16, v23
	v_perm_b32 v23, v23, v22, 0x7060302
	s_mov_b32 s13, -1
	s_and_not1_b32 vcc_lo, exec_lo, s27
	v_and_b32_e32 v162, 0x7fff, v151
	v_and_b32_e32 v160, 0x7fff, v161
                                        ; implicit-def: $vgpr22
	s_delay_alu instid0(VALU_DEP_2) | instskip(NEXT) | instid1(VALU_DEP_2)
	v_cmp_lt_u16_e64 s11, 0x7c00, v162
	v_cmp_gt_u16_e64 s12, 0x7c01, v160
	s_delay_alu instid0(VALU_DEP_1) | instskip(NEXT) | instid1(SALU_CYCLE_1)
	s_and_b32 s28, s11, s12
	s_xor_b32 s28, s28, -1
	s_cbranch_vccnz .LBB6_378
; %bb.373:                              ;   in Loop: Header=BB6_144 Depth=2
	v_mov_b32_e32 v22, v161
	s_and_saveexec_b32 s29, s28
	s_cbranch_execz .LBB6_377
; %bb.374:                              ;   in Loop: Header=BB6_144 Depth=2
	v_mov_b32_e32 v22, v151
	s_or_b32 s13, s11, s12
	s_delay_alu instid0(SALU_CYCLE_1)
	s_and_saveexec_b32 vcc_hi, s13
; %bb.375:                              ;   in Loop: Header=BB6_144 Depth=2
	v_lshrrev_b32_e32 v22, 16, v23
	v_cmp_lt_u16_e64 vcc_lo, 0x7c00, v160
	s_delay_alu instid0(VALU_DEP_2) | instskip(NEXT) | instid1(VALU_DEP_1)
	v_cmp_gt_f16_e64 s13, v23, v22
	v_cndmask_b32_e64 v22, v22, v23, s13
	s_delay_alu instid0(VALU_DEP_3)
	s_and_b32 s13, s11, vcc_lo
	s_delay_alu instid0(VALU_DEP_1) | instid1(SALU_CYCLE_1)
	v_cndmask_b32_e64 v22, v22, 0x7fff, s13
; %bb.376:                              ;   in Loop: Header=BB6_144 Depth=2
	s_or_b32 exec_lo, exec_lo, vcc_hi
.LBB6_377:                              ;   in Loop: Header=BB6_144 Depth=2
	s_delay_alu instid0(SALU_CYCLE_1)
	s_or_b32 exec_lo, exec_lo, s29
	s_mov_b32 s13, 0
.LBB6_378:                              ;   in Loop: Header=BB6_144 Depth=2
	s_delay_alu instid0(SALU_CYCLE_1)
	s_and_not1_b32 vcc_lo, exec_lo, s13
	s_cbranch_vccnz .LBB6_384
; %bb.379:                              ;   in Loop: Header=BB6_144 Depth=2
	s_and_saveexec_b32 s13, s28
	s_cbranch_execz .LBB6_383
; %bb.380:                              ;   in Loop: Header=BB6_144 Depth=2
	s_or_b32 s12, s11, s12
	s_delay_alu instid0(SALU_CYCLE_1)
	s_and_saveexec_b32 s28, s12
; %bb.381:                              ;   in Loop: Header=BB6_144 Depth=2
	v_lshrrev_b32_e32 v22, 16, v23
	v_cmp_lt_u16_e64 vcc_lo, 0x7c00, v160
	s_delay_alu instid0(VALU_DEP_2) | instskip(NEXT) | instid1(VALU_DEP_2)
	v_cmp_gt_f16_e64 s12, v23, v22
	s_and_b32 s11, s11, vcc_lo
	s_delay_alu instid0(VALU_DEP_1) | instskip(NEXT) | instid1(VALU_DEP_1)
	v_cndmask_b32_e64 v22, v23, v22, s12
	v_cndmask_b32_e64 v151, v22, 0x7fff, s11
; %bb.382:                              ;   in Loop: Header=BB6_144 Depth=2
	s_or_b32 exec_lo, exec_lo, s28
	s_delay_alu instid0(VALU_DEP_1)
	v_mov_b32_e32 v161, v151
.LBB6_383:                              ;   in Loop: Header=BB6_144 Depth=2
	s_or_b32 exec_lo, exec_lo, s13
	s_delay_alu instid0(VALU_DEP_1)
	v_mov_b32_e32 v22, v161
.LBB6_384:                              ;   in Loop: Header=BB6_144 Depth=2
	v_and_b32_e32 v23, 0x7fff, v24
	v_and_b32_e32 v151, 0x7fff, v20
	v_perm_b32 v160, v20, v24, 0x5040100
	s_mov_b32 s13, -1
	s_and_not1_b32 vcc_lo, exec_lo, s27
	v_cmp_lt_u16_e64 s11, 0x7c00, v23
	v_cmp_gt_u16_e64 s12, 0x7c01, v151
                                        ; implicit-def: $vgpr23
	s_delay_alu instid0(VALU_DEP_1) | instskip(NEXT) | instid1(SALU_CYCLE_1)
	s_and_b32 s28, s11, s12
	s_xor_b32 s28, s28, -1
	s_cbranch_vccnz .LBB6_390
; %bb.385:                              ;   in Loop: Header=BB6_144 Depth=2
	v_mov_b32_e32 v23, v20
	s_and_saveexec_b32 s29, s28
	s_cbranch_execz .LBB6_389
; %bb.386:                              ;   in Loop: Header=BB6_144 Depth=2
	v_mov_b32_e32 v23, v24
	s_or_b32 s13, s11, s12
	s_delay_alu instid0(SALU_CYCLE_1)
	s_and_saveexec_b32 vcc_hi, s13
; %bb.387:                              ;   in Loop: Header=BB6_144 Depth=2
	v_lshrrev_b32_e32 v23, 16, v160
	v_cmp_lt_u16_e64 vcc_lo, 0x7c00, v151
	s_delay_alu instid0(VALU_DEP_2) | instskip(NEXT) | instid1(VALU_DEP_1)
	v_cmp_gt_f16_e64 s13, v160, v23
	v_cndmask_b32_e64 v23, v23, v160, s13
	s_delay_alu instid0(VALU_DEP_3)
	s_and_b32 s13, s11, vcc_lo
	s_delay_alu instid0(VALU_DEP_1) | instid1(SALU_CYCLE_1)
	v_cndmask_b32_e64 v23, v23, 0x7fff, s13
; %bb.388:                              ;   in Loop: Header=BB6_144 Depth=2
	s_or_b32 exec_lo, exec_lo, vcc_hi
.LBB6_389:                              ;   in Loop: Header=BB6_144 Depth=2
	s_delay_alu instid0(SALU_CYCLE_1)
	s_or_b32 exec_lo, exec_lo, s29
	s_mov_b32 s13, 0
.LBB6_390:                              ;   in Loop: Header=BB6_144 Depth=2
	s_delay_alu instid0(SALU_CYCLE_1)
	s_and_not1_b32 vcc_lo, exec_lo, s13
	s_cbranch_vccnz .LBB6_396
; %bb.391:                              ;   in Loop: Header=BB6_144 Depth=2
	v_mov_b32_e32 v23, v20
	s_and_saveexec_b32 s13, s28
	s_cbranch_execz .LBB6_395
; %bb.392:                              ;   in Loop: Header=BB6_144 Depth=2
	v_mov_b32_e32 v23, v24
	s_or_b32 s12, s11, s12
	s_delay_alu instid0(SALU_CYCLE_1)
	s_and_saveexec_b32 s28, s12
; %bb.393:                              ;   in Loop: Header=BB6_144 Depth=2
	v_lshrrev_b32_e32 v23, 16, v160
	v_cmp_lt_u16_e64 vcc_lo, 0x7c00, v151
	s_delay_alu instid0(VALU_DEP_2) | instskip(NEXT) | instid1(VALU_DEP_2)
	v_cmp_gt_f16_e64 s12, v160, v23
	s_and_b32 s11, s11, vcc_lo
	s_delay_alu instid0(VALU_DEP_1) | instskip(NEXT) | instid1(VALU_DEP_1)
	v_cndmask_b32_e64 v23, v160, v23, s12
	v_cndmask_b32_e64 v23, v23, 0x7fff, s11
; %bb.394:                              ;   in Loop: Header=BB6_144 Depth=2
	s_or_b32 exec_lo, exec_lo, s28
.LBB6_395:                              ;   in Loop: Header=BB6_144 Depth=2
	s_delay_alu instid0(SALU_CYCLE_1)
	s_or_b32 exec_lo, exec_lo, s13
.LBB6_396:                              ;   in Loop: Header=BB6_144 Depth=2
	v_mov_b32_e32 v161, v24
	v_lshrrev_b32_e32 v160, 16, v20
	s_mov_b32 s13, -1
	s_and_not1_b32 vcc_lo, exec_lo, s27
	s_delay_alu instid0(VALU_DEP_2) | instskip(NEXT) | instid1(VALU_DEP_2)
	v_lshrrev_b32_e32 v24, 16, v161
	v_and_b32_e32 v151, 0x7fff, v160
	s_delay_alu instid0(VALU_DEP_2) | instskip(NEXT) | instid1(VALU_DEP_2)
	v_and_b32_e32 v162, 0x7fff, v24
	v_cmp_gt_u16_e64 s12, 0x7c01, v151
	v_perm_b32 v161, v20, v161, 0x7060302
                                        ; implicit-def: $vgpr20
	s_delay_alu instid0(VALU_DEP_3) | instskip(NEXT) | instid1(VALU_DEP_1)
	v_cmp_lt_u16_e64 s11, 0x7c00, v162
	s_and_b32 s28, s11, s12
	s_delay_alu instid0(SALU_CYCLE_1)
	s_xor_b32 s28, s28, -1
	s_cbranch_vccnz .LBB6_402
; %bb.397:                              ;   in Loop: Header=BB6_144 Depth=2
	v_mov_b32_e32 v20, v160
	s_and_saveexec_b32 s29, s28
	s_cbranch_execz .LBB6_401
; %bb.398:                              ;   in Loop: Header=BB6_144 Depth=2
	v_mov_b32_e32 v20, v24
	s_or_b32 s13, s11, s12
	s_delay_alu instid0(SALU_CYCLE_1)
	s_and_saveexec_b32 vcc_hi, s13
; %bb.399:                              ;   in Loop: Header=BB6_144 Depth=2
	v_lshrrev_b32_e32 v20, 16, v161
	v_cmp_lt_u16_e64 vcc_lo, 0x7c00, v151
	s_delay_alu instid0(VALU_DEP_2) | instskip(NEXT) | instid1(VALU_DEP_1)
	v_cmp_gt_f16_e64 s13, v161, v20
	v_cndmask_b32_e64 v20, v20, v161, s13
	s_delay_alu instid0(VALU_DEP_3)
	s_and_b32 s13, s11, vcc_lo
	s_delay_alu instid0(VALU_DEP_1) | instid1(SALU_CYCLE_1)
	v_cndmask_b32_e64 v20, v20, 0x7fff, s13
; %bb.400:                              ;   in Loop: Header=BB6_144 Depth=2
	s_or_b32 exec_lo, exec_lo, vcc_hi
.LBB6_401:                              ;   in Loop: Header=BB6_144 Depth=2
	s_delay_alu instid0(SALU_CYCLE_1)
	s_or_b32 exec_lo, exec_lo, s29
	s_mov_b32 s13, 0
.LBB6_402:                              ;   in Loop: Header=BB6_144 Depth=2
	s_delay_alu instid0(SALU_CYCLE_1)
	s_and_not1_b32 vcc_lo, exec_lo, s13
	s_cbranch_vccnz .LBB6_408
; %bb.403:                              ;   in Loop: Header=BB6_144 Depth=2
	s_and_saveexec_b32 s13, s28
	s_cbranch_execz .LBB6_407
; %bb.404:                              ;   in Loop: Header=BB6_144 Depth=2
	s_or_b32 s12, s11, s12
	s_delay_alu instid0(SALU_CYCLE_1)
	s_and_saveexec_b32 s28, s12
; %bb.405:                              ;   in Loop: Header=BB6_144 Depth=2
	v_lshrrev_b32_e32 v20, 16, v161
	v_cmp_lt_u16_e64 vcc_lo, 0x7c00, v151
	s_delay_alu instid0(VALU_DEP_2) | instskip(NEXT) | instid1(VALU_DEP_2)
	v_cmp_gt_f16_e64 s12, v161, v20
	s_and_b32 s11, s11, vcc_lo
	s_delay_alu instid0(VALU_DEP_1) | instskip(NEXT) | instid1(VALU_DEP_1)
	v_cndmask_b32_e64 v20, v161, v20, s12
	v_cndmask_b32_e64 v24, v20, 0x7fff, s11
; %bb.406:                              ;   in Loop: Header=BB6_144 Depth=2
	s_or_b32 exec_lo, exec_lo, s28
	s_delay_alu instid0(VALU_DEP_1)
	v_mov_b32_e32 v160, v24
.LBB6_407:                              ;   in Loop: Header=BB6_144 Depth=2
	s_or_b32 exec_lo, exec_lo, s13
	s_delay_alu instid0(VALU_DEP_1)
	v_mov_b32_e32 v20, v160
.LBB6_408:                              ;   in Loop: Header=BB6_144 Depth=2
	v_and_b32_e32 v24, 0x7fff, v25
	v_and_b32_e32 v151, 0x7fff, v21
	v_perm_b32 v160, v21, v25, 0x5040100
	s_mov_b32 s13, -1
	s_and_not1_b32 vcc_lo, exec_lo, s27
	v_cmp_lt_u16_e64 s11, 0x7c00, v24
	v_cmp_gt_u16_e64 s12, 0x7c01, v151
                                        ; implicit-def: $vgpr24
	s_delay_alu instid0(VALU_DEP_1) | instskip(NEXT) | instid1(SALU_CYCLE_1)
	s_and_b32 s28, s11, s12
	s_xor_b32 s28, s28, -1
	s_cbranch_vccnz .LBB6_414
; %bb.409:                              ;   in Loop: Header=BB6_144 Depth=2
	v_mov_b32_e32 v24, v21
	s_and_saveexec_b32 s29, s28
	s_cbranch_execz .LBB6_413
; %bb.410:                              ;   in Loop: Header=BB6_144 Depth=2
	v_mov_b32_e32 v24, v25
	s_or_b32 s13, s11, s12
	s_delay_alu instid0(SALU_CYCLE_1)
	s_and_saveexec_b32 vcc_hi, s13
; %bb.411:                              ;   in Loop: Header=BB6_144 Depth=2
	v_lshrrev_b32_e32 v24, 16, v160
	v_cmp_lt_u16_e64 vcc_lo, 0x7c00, v151
	s_delay_alu instid0(VALU_DEP_2) | instskip(NEXT) | instid1(VALU_DEP_1)
	v_cmp_gt_f16_e64 s13, v160, v24
	v_cndmask_b32_e64 v24, v24, v160, s13
	s_delay_alu instid0(VALU_DEP_3)
	s_and_b32 s13, s11, vcc_lo
	s_delay_alu instid0(VALU_DEP_1) | instid1(SALU_CYCLE_1)
	v_cndmask_b32_e64 v24, v24, 0x7fff, s13
; %bb.412:                              ;   in Loop: Header=BB6_144 Depth=2
	s_or_b32 exec_lo, exec_lo, vcc_hi
.LBB6_413:                              ;   in Loop: Header=BB6_144 Depth=2
	s_delay_alu instid0(SALU_CYCLE_1)
	s_or_b32 exec_lo, exec_lo, s29
	s_mov_b32 s13, 0
.LBB6_414:                              ;   in Loop: Header=BB6_144 Depth=2
	s_delay_alu instid0(SALU_CYCLE_1)
	s_and_not1_b32 vcc_lo, exec_lo, s13
	s_cbranch_vccnz .LBB6_420
; %bb.415:                              ;   in Loop: Header=BB6_144 Depth=2
	v_mov_b32_e32 v24, v21
	s_and_saveexec_b32 s13, s28
	s_cbranch_execz .LBB6_419
; %bb.416:                              ;   in Loop: Header=BB6_144 Depth=2
	v_mov_b32_e32 v24, v25
	s_or_b32 s12, s11, s12
	s_delay_alu instid0(SALU_CYCLE_1)
	s_and_saveexec_b32 s28, s12
; %bb.417:                              ;   in Loop: Header=BB6_144 Depth=2
	v_lshrrev_b32_e32 v24, 16, v160
	v_cmp_lt_u16_e64 vcc_lo, 0x7c00, v151
	s_delay_alu instid0(VALU_DEP_2) | instskip(NEXT) | instid1(VALU_DEP_2)
	v_cmp_gt_f16_e64 s12, v160, v24
	s_and_b32 s11, s11, vcc_lo
	s_delay_alu instid0(VALU_DEP_1) | instskip(NEXT) | instid1(VALU_DEP_1)
	v_cndmask_b32_e64 v24, v160, v24, s12
	v_cndmask_b32_e64 v24, v24, 0x7fff, s11
; %bb.418:                              ;   in Loop: Header=BB6_144 Depth=2
	s_or_b32 exec_lo, exec_lo, s28
.LBB6_419:                              ;   in Loop: Header=BB6_144 Depth=2
	s_delay_alu instid0(SALU_CYCLE_1)
	s_or_b32 exec_lo, exec_lo, s13
.LBB6_420:                              ;   in Loop: Header=BB6_144 Depth=2
	v_lshrrev_b32_e32 v151, 16, v25
	v_lshrrev_b32_e32 v161, 16, v21
	v_perm_b32 v25, v21, v25, 0x7060302
	s_mov_b32 s13, -1
	s_and_not1_b32 vcc_lo, exec_lo, s27
	v_and_b32_e32 v162, 0x7fff, v151
	v_and_b32_e32 v160, 0x7fff, v161
                                        ; implicit-def: $vgpr21
	s_delay_alu instid0(VALU_DEP_2) | instskip(NEXT) | instid1(VALU_DEP_2)
	v_cmp_lt_u16_e64 s11, 0x7c00, v162
	v_cmp_gt_u16_e64 s12, 0x7c01, v160
	s_delay_alu instid0(VALU_DEP_1) | instskip(NEXT) | instid1(SALU_CYCLE_1)
	s_and_b32 s28, s11, s12
	s_xor_b32 s28, s28, -1
	s_cbranch_vccnz .LBB6_426
; %bb.421:                              ;   in Loop: Header=BB6_144 Depth=2
	v_mov_b32_e32 v21, v161
	s_and_saveexec_b32 s29, s28
	s_cbranch_execz .LBB6_425
; %bb.422:                              ;   in Loop: Header=BB6_144 Depth=2
	v_mov_b32_e32 v21, v151
	s_or_b32 s13, s11, s12
	s_delay_alu instid0(SALU_CYCLE_1)
	s_and_saveexec_b32 vcc_hi, s13
; %bb.423:                              ;   in Loop: Header=BB6_144 Depth=2
	v_lshrrev_b32_e32 v21, 16, v25
	v_cmp_lt_u16_e64 vcc_lo, 0x7c00, v160
	s_delay_alu instid0(VALU_DEP_2) | instskip(NEXT) | instid1(VALU_DEP_1)
	v_cmp_gt_f16_e64 s13, v25, v21
	v_cndmask_b32_e64 v21, v21, v25, s13
	s_delay_alu instid0(VALU_DEP_3)
	s_and_b32 s13, s11, vcc_lo
	s_delay_alu instid0(VALU_DEP_1) | instid1(SALU_CYCLE_1)
	v_cndmask_b32_e64 v21, v21, 0x7fff, s13
; %bb.424:                              ;   in Loop: Header=BB6_144 Depth=2
	s_or_b32 exec_lo, exec_lo, vcc_hi
.LBB6_425:                              ;   in Loop: Header=BB6_144 Depth=2
	s_delay_alu instid0(SALU_CYCLE_1)
	s_or_b32 exec_lo, exec_lo, s29
	s_mov_b32 s13, 0
.LBB6_426:                              ;   in Loop: Header=BB6_144 Depth=2
	s_delay_alu instid0(SALU_CYCLE_1)
	s_and_not1_b32 vcc_lo, exec_lo, s13
	s_cbranch_vccnz .LBB6_432
; %bb.427:                              ;   in Loop: Header=BB6_144 Depth=2
	s_and_saveexec_b32 s13, s28
	s_cbranch_execz .LBB6_431
; %bb.428:                              ;   in Loop: Header=BB6_144 Depth=2
	s_or_b32 s12, s11, s12
	s_delay_alu instid0(SALU_CYCLE_1)
	s_and_saveexec_b32 s28, s12
; %bb.429:                              ;   in Loop: Header=BB6_144 Depth=2
	v_lshrrev_b32_e32 v21, 16, v25
	v_cmp_lt_u16_e64 vcc_lo, 0x7c00, v160
	s_delay_alu instid0(VALU_DEP_2) | instskip(NEXT) | instid1(VALU_DEP_2)
	v_cmp_gt_f16_e64 s12, v25, v21
	s_and_b32 s11, s11, vcc_lo
	s_delay_alu instid0(VALU_DEP_1) | instskip(NEXT) | instid1(VALU_DEP_1)
	v_cndmask_b32_e64 v21, v25, v21, s12
	v_cndmask_b32_e64 v151, v21, 0x7fff, s11
; %bb.430:                              ;   in Loop: Header=BB6_144 Depth=2
	s_or_b32 exec_lo, exec_lo, s28
	s_delay_alu instid0(VALU_DEP_1)
	v_mov_b32_e32 v161, v151
.LBB6_431:                              ;   in Loop: Header=BB6_144 Depth=2
	s_or_b32 exec_lo, exec_lo, s13
	s_delay_alu instid0(VALU_DEP_1)
	v_mov_b32_e32 v21, v161
.LBB6_432:                              ;   in Loop: Header=BB6_144 Depth=2
	v_and_b32_e32 v25, 0x7fff, v14
	s_waitcnt vmcnt(0)
	v_and_b32_e32 v151, 0x7fff, v10
	v_perm_b32 v160, v10, v14, 0x5040100
	s_mov_b32 s13, -1
	s_and_not1_b32 vcc_lo, exec_lo, s27
	v_cmp_lt_u16_e64 s11, 0x7c00, v25
	v_cmp_gt_u16_e64 s12, 0x7c01, v151
                                        ; implicit-def: $vgpr25
	s_delay_alu instid0(VALU_DEP_1) | instskip(NEXT) | instid1(SALU_CYCLE_1)
	s_and_b32 s28, s11, s12
	s_xor_b32 s28, s28, -1
	s_cbranch_vccnz .LBB6_438
; %bb.433:                              ;   in Loop: Header=BB6_144 Depth=2
	v_mov_b32_e32 v25, v10
	s_and_saveexec_b32 s29, s28
	s_cbranch_execz .LBB6_437
; %bb.434:                              ;   in Loop: Header=BB6_144 Depth=2
	v_mov_b32_e32 v25, v14
	s_or_b32 s13, s11, s12
	s_delay_alu instid0(SALU_CYCLE_1)
	s_and_saveexec_b32 vcc_hi, s13
; %bb.435:                              ;   in Loop: Header=BB6_144 Depth=2
	v_lshrrev_b32_e32 v25, 16, v160
	v_cmp_lt_u16_e64 vcc_lo, 0x7c00, v151
	s_delay_alu instid0(VALU_DEP_2) | instskip(NEXT) | instid1(VALU_DEP_1)
	v_cmp_gt_f16_e64 s13, v160, v25
	v_cndmask_b32_e64 v25, v25, v160, s13
	s_delay_alu instid0(VALU_DEP_3)
	s_and_b32 s13, s11, vcc_lo
	s_delay_alu instid0(VALU_DEP_1) | instid1(SALU_CYCLE_1)
	v_cndmask_b32_e64 v25, v25, 0x7fff, s13
; %bb.436:                              ;   in Loop: Header=BB6_144 Depth=2
	s_or_b32 exec_lo, exec_lo, vcc_hi
.LBB6_437:                              ;   in Loop: Header=BB6_144 Depth=2
	s_delay_alu instid0(SALU_CYCLE_1)
	s_or_b32 exec_lo, exec_lo, s29
	s_mov_b32 s13, 0
.LBB6_438:                              ;   in Loop: Header=BB6_144 Depth=2
	s_delay_alu instid0(SALU_CYCLE_1)
	s_and_not1_b32 vcc_lo, exec_lo, s13
	s_cbranch_vccnz .LBB6_444
; %bb.439:                              ;   in Loop: Header=BB6_144 Depth=2
	v_mov_b32_e32 v25, v10
	s_and_saveexec_b32 s13, s28
	s_cbranch_execz .LBB6_443
; %bb.440:                              ;   in Loop: Header=BB6_144 Depth=2
	v_mov_b32_e32 v25, v14
	s_or_b32 s12, s11, s12
	s_delay_alu instid0(SALU_CYCLE_1)
	s_and_saveexec_b32 s28, s12
; %bb.441:                              ;   in Loop: Header=BB6_144 Depth=2
	v_lshrrev_b32_e32 v25, 16, v160
	v_cmp_lt_u16_e64 vcc_lo, 0x7c00, v151
	s_delay_alu instid0(VALU_DEP_2) | instskip(NEXT) | instid1(VALU_DEP_2)
	v_cmp_gt_f16_e64 s12, v160, v25
	s_and_b32 s11, s11, vcc_lo
	s_delay_alu instid0(VALU_DEP_1) | instskip(NEXT) | instid1(VALU_DEP_1)
	v_cndmask_b32_e64 v25, v160, v25, s12
	v_cndmask_b32_e64 v25, v25, 0x7fff, s11
; %bb.442:                              ;   in Loop: Header=BB6_144 Depth=2
	s_or_b32 exec_lo, exec_lo, s28
.LBB6_443:                              ;   in Loop: Header=BB6_144 Depth=2
	s_delay_alu instid0(SALU_CYCLE_1)
	s_or_b32 exec_lo, exec_lo, s13
.LBB6_444:                              ;   in Loop: Header=BB6_144 Depth=2
	v_mov_b32_e32 v162, v14
	v_lshrrev_b32_e32 v161, 16, v10
	s_mov_b32 s13, -1
	s_and_not1_b32 vcc_lo, exec_lo, s27
	s_delay_alu instid0(VALU_DEP_2) | instskip(NEXT) | instid1(VALU_DEP_2)
	v_lshrrev_b32_e32 v151, 16, v162
	v_and_b32_e32 v160, 0x7fff, v161
	s_delay_alu instid0(VALU_DEP_2) | instskip(NEXT) | instid1(VALU_DEP_2)
	v_and_b32_e32 v14, 0x7fff, v151
	v_cmp_gt_u16_e64 s12, 0x7c01, v160
	s_delay_alu instid0(VALU_DEP_2) | instskip(SKIP_3) | instid1(VALU_DEP_4)
	v_cmp_lt_u16_e64 s11, 0x7c00, v14
	v_mov_b32_e32 v14, v15
	v_mov_b32_e32 v15, v11
	v_perm_b32 v11, v10, v162, 0x7060302
                                        ; implicit-def: $vgpr10
	s_and_b32 s28, s11, s12
	s_delay_alu instid0(SALU_CYCLE_1)
	s_xor_b32 s28, s28, -1
	s_cbranch_vccnz .LBB6_450
; %bb.445:                              ;   in Loop: Header=BB6_144 Depth=2
	v_mov_b32_e32 v10, v161
	s_and_saveexec_b32 s29, s28
	s_cbranch_execz .LBB6_449
; %bb.446:                              ;   in Loop: Header=BB6_144 Depth=2
	v_mov_b32_e32 v10, v151
	s_or_b32 s13, s11, s12
	s_delay_alu instid0(SALU_CYCLE_1)
	s_and_saveexec_b32 vcc_hi, s13
; %bb.447:                              ;   in Loop: Header=BB6_144 Depth=2
	v_lshrrev_b32_e32 v10, 16, v11
	v_cmp_lt_u16_e64 vcc_lo, 0x7c00, v160
	s_delay_alu instid0(VALU_DEP_2) | instskip(NEXT) | instid1(VALU_DEP_1)
	v_cmp_gt_f16_e64 s13, v11, v10
	v_cndmask_b32_e64 v10, v10, v11, s13
	s_delay_alu instid0(VALU_DEP_3)
	s_and_b32 s13, s11, vcc_lo
	s_delay_alu instid0(VALU_DEP_1) | instid1(SALU_CYCLE_1)
	v_cndmask_b32_e64 v10, v10, 0x7fff, s13
; %bb.448:                              ;   in Loop: Header=BB6_144 Depth=2
	s_or_b32 exec_lo, exec_lo, vcc_hi
.LBB6_449:                              ;   in Loop: Header=BB6_144 Depth=2
	s_delay_alu instid0(SALU_CYCLE_1)
	s_or_b32 exec_lo, exec_lo, s29
	s_mov_b32 s13, 0
.LBB6_450:                              ;   in Loop: Header=BB6_144 Depth=2
	s_delay_alu instid0(SALU_CYCLE_1)
	s_and_not1_b32 vcc_lo, exec_lo, s13
	s_cbranch_vccnz .LBB6_456
; %bb.451:                              ;   in Loop: Header=BB6_144 Depth=2
	s_and_saveexec_b32 s13, s28
	s_cbranch_execz .LBB6_455
; %bb.452:                              ;   in Loop: Header=BB6_144 Depth=2
	s_or_b32 s12, s11, s12
	s_delay_alu instid0(SALU_CYCLE_1)
	s_and_saveexec_b32 s28, s12
; %bb.453:                              ;   in Loop: Header=BB6_144 Depth=2
	v_lshrrev_b32_e32 v10, 16, v11
	v_cmp_lt_u16_e64 vcc_lo, 0x7c00, v160
	s_delay_alu instid0(VALU_DEP_2) | instskip(NEXT) | instid1(VALU_DEP_2)
	v_cmp_gt_f16_e64 s12, v11, v10
	s_and_b32 s11, s11, vcc_lo
	s_delay_alu instid0(VALU_DEP_1) | instskip(NEXT) | instid1(VALU_DEP_1)
	v_cndmask_b32_e64 v10, v11, v10, s12
	v_cndmask_b32_e64 v151, v10, 0x7fff, s11
; %bb.454:                              ;   in Loop: Header=BB6_144 Depth=2
	s_or_b32 exec_lo, exec_lo, s28
	s_delay_alu instid0(VALU_DEP_1)
	v_mov_b32_e32 v161, v151
.LBB6_455:                              ;   in Loop: Header=BB6_144 Depth=2
	s_or_b32 exec_lo, exec_lo, s13
	s_delay_alu instid0(VALU_DEP_1)
	v_mov_b32_e32 v10, v161
.LBB6_456:                              ;   in Loop: Header=BB6_144 Depth=2
	v_and_b32_e32 v11, 0x7fff, v14
	v_and_b32_e32 v151, 0x7fff, v15
	v_perm_b32 v160, v15, v14, 0x5040100
	s_mov_b32 s13, -1
	s_and_not1_b32 vcc_lo, exec_lo, s27
	v_cmp_lt_u16_e64 s11, 0x7c00, v11
	v_cmp_gt_u16_e64 s12, 0x7c01, v151
                                        ; implicit-def: $vgpr11
	s_delay_alu instid0(VALU_DEP_1) | instskip(NEXT) | instid1(SALU_CYCLE_1)
	s_and_b32 s28, s11, s12
	s_xor_b32 s28, s28, -1
	s_cbranch_vccnz .LBB6_462
; %bb.457:                              ;   in Loop: Header=BB6_144 Depth=2
	v_mov_b32_e32 v11, v15
	s_and_saveexec_b32 s29, s28
	s_cbranch_execz .LBB6_461
; %bb.458:                              ;   in Loop: Header=BB6_144 Depth=2
	v_mov_b32_e32 v11, v14
	s_or_b32 s13, s11, s12
	s_delay_alu instid0(SALU_CYCLE_1)
	s_and_saveexec_b32 vcc_hi, s13
; %bb.459:                              ;   in Loop: Header=BB6_144 Depth=2
	v_lshrrev_b32_e32 v11, 16, v160
	v_cmp_lt_u16_e64 vcc_lo, 0x7c00, v151
	s_delay_alu instid0(VALU_DEP_2) | instskip(NEXT) | instid1(VALU_DEP_1)
	v_cmp_gt_f16_e64 s13, v160, v11
	v_cndmask_b32_e64 v11, v11, v160, s13
	s_delay_alu instid0(VALU_DEP_3)
	s_and_b32 s13, s11, vcc_lo
	s_delay_alu instid0(VALU_DEP_1) | instid1(SALU_CYCLE_1)
	v_cndmask_b32_e64 v11, v11, 0x7fff, s13
; %bb.460:                              ;   in Loop: Header=BB6_144 Depth=2
	s_or_b32 exec_lo, exec_lo, vcc_hi
.LBB6_461:                              ;   in Loop: Header=BB6_144 Depth=2
	s_delay_alu instid0(SALU_CYCLE_1)
	s_or_b32 exec_lo, exec_lo, s29
	s_mov_b32 s13, 0
.LBB6_462:                              ;   in Loop: Header=BB6_144 Depth=2
	s_delay_alu instid0(SALU_CYCLE_1)
	s_and_not1_b32 vcc_lo, exec_lo, s13
	s_cbranch_vccnz .LBB6_468
; %bb.463:                              ;   in Loop: Header=BB6_144 Depth=2
	v_mov_b32_e32 v11, v15
	s_and_saveexec_b32 s13, s28
	s_cbranch_execz .LBB6_467
; %bb.464:                              ;   in Loop: Header=BB6_144 Depth=2
	v_mov_b32_e32 v11, v14
	s_or_b32 s12, s11, s12
	s_delay_alu instid0(SALU_CYCLE_1)
	s_and_saveexec_b32 s28, s12
; %bb.465:                              ;   in Loop: Header=BB6_144 Depth=2
	v_lshrrev_b32_e32 v11, 16, v160
	v_cmp_lt_u16_e64 vcc_lo, 0x7c00, v151
	s_delay_alu instid0(VALU_DEP_2) | instskip(NEXT) | instid1(VALU_DEP_2)
	v_cmp_gt_f16_e64 s12, v160, v11
	s_and_b32 s11, s11, vcc_lo
	s_delay_alu instid0(VALU_DEP_1) | instskip(NEXT) | instid1(VALU_DEP_1)
	v_cndmask_b32_e64 v11, v160, v11, s12
	v_cndmask_b32_e64 v11, v11, 0x7fff, s11
; %bb.466:                              ;   in Loop: Header=BB6_144 Depth=2
	s_or_b32 exec_lo, exec_lo, s28
.LBB6_467:                              ;   in Loop: Header=BB6_144 Depth=2
	s_delay_alu instid0(SALU_CYCLE_1)
	s_or_b32 exec_lo, exec_lo, s13
.LBB6_468:                              ;   in Loop: Header=BB6_144 Depth=2
	v_lshrrev_b32_e32 v151, 16, v14
	v_lshrrev_b32_e32 v161, 16, v15
	v_perm_b32 v15, v15, v14, 0x7060302
	s_mov_b32 s13, -1
	s_and_not1_b32 vcc_lo, exec_lo, s27
	v_and_b32_e32 v162, 0x7fff, v151
	v_and_b32_e32 v160, 0x7fff, v161
                                        ; implicit-def: $vgpr14
	s_delay_alu instid0(VALU_DEP_2) | instskip(NEXT) | instid1(VALU_DEP_2)
	v_cmp_lt_u16_e64 s11, 0x7c00, v162
	v_cmp_gt_u16_e64 s12, 0x7c01, v160
	s_delay_alu instid0(VALU_DEP_1) | instskip(NEXT) | instid1(SALU_CYCLE_1)
	s_and_b32 s28, s11, s12
	s_xor_b32 s28, s28, -1
	s_cbranch_vccnz .LBB6_474
; %bb.469:                              ;   in Loop: Header=BB6_144 Depth=2
	v_mov_b32_e32 v14, v161
	s_and_saveexec_b32 s29, s28
	s_cbranch_execz .LBB6_473
; %bb.470:                              ;   in Loop: Header=BB6_144 Depth=2
	v_mov_b32_e32 v14, v151
	s_or_b32 s13, s11, s12
	s_delay_alu instid0(SALU_CYCLE_1)
	s_and_saveexec_b32 vcc_hi, s13
; %bb.471:                              ;   in Loop: Header=BB6_144 Depth=2
	v_lshrrev_b32_e32 v14, 16, v15
	v_cmp_lt_u16_e64 vcc_lo, 0x7c00, v160
	s_delay_alu instid0(VALU_DEP_2) | instskip(NEXT) | instid1(VALU_DEP_1)
	v_cmp_gt_f16_e64 s13, v15, v14
	v_cndmask_b32_e64 v14, v14, v15, s13
	s_delay_alu instid0(VALU_DEP_3)
	s_and_b32 s13, s11, vcc_lo
	s_delay_alu instid0(VALU_DEP_1) | instid1(SALU_CYCLE_1)
	v_cndmask_b32_e64 v14, v14, 0x7fff, s13
; %bb.472:                              ;   in Loop: Header=BB6_144 Depth=2
	s_or_b32 exec_lo, exec_lo, vcc_hi
.LBB6_473:                              ;   in Loop: Header=BB6_144 Depth=2
	s_delay_alu instid0(SALU_CYCLE_1)
	s_or_b32 exec_lo, exec_lo, s29
	s_mov_b32 s13, 0
.LBB6_474:                              ;   in Loop: Header=BB6_144 Depth=2
	s_delay_alu instid0(SALU_CYCLE_1)
	s_and_not1_b32 vcc_lo, exec_lo, s13
	s_cbranch_vccnz .LBB6_480
; %bb.475:                              ;   in Loop: Header=BB6_144 Depth=2
	s_and_saveexec_b32 s13, s28
	s_cbranch_execz .LBB6_479
; %bb.476:                              ;   in Loop: Header=BB6_144 Depth=2
	s_or_b32 s12, s11, s12
	s_delay_alu instid0(SALU_CYCLE_1)
	s_and_saveexec_b32 s28, s12
; %bb.477:                              ;   in Loop: Header=BB6_144 Depth=2
	v_lshrrev_b32_e32 v14, 16, v15
	v_cmp_lt_u16_e64 vcc_lo, 0x7c00, v160
	s_delay_alu instid0(VALU_DEP_2) | instskip(NEXT) | instid1(VALU_DEP_2)
	v_cmp_gt_f16_e64 s12, v15, v14
	s_and_b32 s11, s11, vcc_lo
	s_delay_alu instid0(VALU_DEP_1) | instskip(NEXT) | instid1(VALU_DEP_1)
	v_cndmask_b32_e64 v14, v15, v14, s12
	v_cndmask_b32_e64 v151, v14, 0x7fff, s11
; %bb.478:                              ;   in Loop: Header=BB6_144 Depth=2
	s_or_b32 exec_lo, exec_lo, s28
	s_delay_alu instid0(VALU_DEP_1)
	v_mov_b32_e32 v161, v151
.LBB6_479:                              ;   in Loop: Header=BB6_144 Depth=2
	s_or_b32 exec_lo, exec_lo, s13
	s_delay_alu instid0(VALU_DEP_1)
	v_mov_b32_e32 v14, v161
.LBB6_480:                              ;   in Loop: Header=BB6_144 Depth=2
	v_and_b32_e32 v15, 0x7fff, v16
	v_and_b32_e32 v151, 0x7fff, v12
	v_perm_b32 v160, v12, v16, 0x5040100
	s_mov_b32 s13, -1
	s_and_not1_b32 vcc_lo, exec_lo, s27
	v_cmp_lt_u16_e64 s11, 0x7c00, v15
	v_cmp_gt_u16_e64 s12, 0x7c01, v151
                                        ; implicit-def: $vgpr15
	s_delay_alu instid0(VALU_DEP_1) | instskip(NEXT) | instid1(SALU_CYCLE_1)
	s_and_b32 s28, s11, s12
	s_xor_b32 s28, s28, -1
	s_cbranch_vccnz .LBB6_486
; %bb.481:                              ;   in Loop: Header=BB6_144 Depth=2
	v_mov_b32_e32 v15, v12
	s_and_saveexec_b32 s29, s28
	s_cbranch_execz .LBB6_485
; %bb.482:                              ;   in Loop: Header=BB6_144 Depth=2
	v_mov_b32_e32 v15, v16
	s_or_b32 s13, s11, s12
	s_delay_alu instid0(SALU_CYCLE_1)
	s_and_saveexec_b32 vcc_hi, s13
; %bb.483:                              ;   in Loop: Header=BB6_144 Depth=2
	v_lshrrev_b32_e32 v15, 16, v160
	v_cmp_lt_u16_e64 vcc_lo, 0x7c00, v151
	s_delay_alu instid0(VALU_DEP_2) | instskip(NEXT) | instid1(VALU_DEP_1)
	v_cmp_gt_f16_e64 s13, v160, v15
	v_cndmask_b32_e64 v15, v15, v160, s13
	s_delay_alu instid0(VALU_DEP_3)
	s_and_b32 s13, s11, vcc_lo
	s_delay_alu instid0(VALU_DEP_1) | instid1(SALU_CYCLE_1)
	v_cndmask_b32_e64 v15, v15, 0x7fff, s13
; %bb.484:                              ;   in Loop: Header=BB6_144 Depth=2
	s_or_b32 exec_lo, exec_lo, vcc_hi
.LBB6_485:                              ;   in Loop: Header=BB6_144 Depth=2
	s_delay_alu instid0(SALU_CYCLE_1)
	s_or_b32 exec_lo, exec_lo, s29
	s_mov_b32 s13, 0
.LBB6_486:                              ;   in Loop: Header=BB6_144 Depth=2
	s_delay_alu instid0(SALU_CYCLE_1)
	s_and_not1_b32 vcc_lo, exec_lo, s13
	s_cbranch_vccnz .LBB6_492
; %bb.487:                              ;   in Loop: Header=BB6_144 Depth=2
	v_mov_b32_e32 v15, v12
	s_and_saveexec_b32 s13, s28
	s_cbranch_execz .LBB6_491
; %bb.488:                              ;   in Loop: Header=BB6_144 Depth=2
	v_mov_b32_e32 v15, v16
	s_or_b32 s12, s11, s12
	s_delay_alu instid0(SALU_CYCLE_1)
	s_and_saveexec_b32 s28, s12
; %bb.489:                              ;   in Loop: Header=BB6_144 Depth=2
	v_lshrrev_b32_e32 v15, 16, v160
	v_cmp_lt_u16_e64 vcc_lo, 0x7c00, v151
	s_delay_alu instid0(VALU_DEP_2) | instskip(NEXT) | instid1(VALU_DEP_2)
	v_cmp_gt_f16_e64 s12, v160, v15
	s_and_b32 s11, s11, vcc_lo
	s_delay_alu instid0(VALU_DEP_1) | instskip(NEXT) | instid1(VALU_DEP_1)
	v_cndmask_b32_e64 v15, v160, v15, s12
	v_cndmask_b32_e64 v15, v15, 0x7fff, s11
; %bb.490:                              ;   in Loop: Header=BB6_144 Depth=2
	s_or_b32 exec_lo, exec_lo, s28
.LBB6_491:                              ;   in Loop: Header=BB6_144 Depth=2
	s_delay_alu instid0(SALU_CYCLE_1)
	s_or_b32 exec_lo, exec_lo, s13
.LBB6_492:                              ;   in Loop: Header=BB6_144 Depth=2
	v_mov_b32_e32 v161, v16
	v_lshrrev_b32_e32 v160, 16, v12
	s_mov_b32 s13, -1
	s_and_not1_b32 vcc_lo, exec_lo, s27
	s_delay_alu instid0(VALU_DEP_2) | instskip(NEXT) | instid1(VALU_DEP_2)
	v_lshrrev_b32_e32 v16, 16, v161
	v_and_b32_e32 v151, 0x7fff, v160
	s_delay_alu instid0(VALU_DEP_2) | instskip(NEXT) | instid1(VALU_DEP_2)
	v_and_b32_e32 v162, 0x7fff, v16
	v_cmp_gt_u16_e64 s12, 0x7c01, v151
	v_perm_b32 v161, v12, v161, 0x7060302
                                        ; implicit-def: $vgpr12
	s_delay_alu instid0(VALU_DEP_3) | instskip(NEXT) | instid1(VALU_DEP_1)
	v_cmp_lt_u16_e64 s11, 0x7c00, v162
	s_and_b32 s28, s11, s12
	s_delay_alu instid0(SALU_CYCLE_1)
	s_xor_b32 s28, s28, -1
	s_cbranch_vccnz .LBB6_498
; %bb.493:                              ;   in Loop: Header=BB6_144 Depth=2
	v_mov_b32_e32 v12, v160
	s_and_saveexec_b32 s29, s28
	s_cbranch_execz .LBB6_497
; %bb.494:                              ;   in Loop: Header=BB6_144 Depth=2
	v_mov_b32_e32 v12, v16
	s_or_b32 s13, s11, s12
	s_delay_alu instid0(SALU_CYCLE_1)
	s_and_saveexec_b32 vcc_hi, s13
; %bb.495:                              ;   in Loop: Header=BB6_144 Depth=2
	v_lshrrev_b32_e32 v12, 16, v161
	v_cmp_lt_u16_e64 vcc_lo, 0x7c00, v151
	s_delay_alu instid0(VALU_DEP_2) | instskip(NEXT) | instid1(VALU_DEP_1)
	v_cmp_gt_f16_e64 s13, v161, v12
	v_cndmask_b32_e64 v12, v12, v161, s13
	s_delay_alu instid0(VALU_DEP_3)
	s_and_b32 s13, s11, vcc_lo
	s_delay_alu instid0(VALU_DEP_1) | instid1(SALU_CYCLE_1)
	v_cndmask_b32_e64 v12, v12, 0x7fff, s13
; %bb.496:                              ;   in Loop: Header=BB6_144 Depth=2
	s_or_b32 exec_lo, exec_lo, vcc_hi
.LBB6_497:                              ;   in Loop: Header=BB6_144 Depth=2
	s_delay_alu instid0(SALU_CYCLE_1)
	s_or_b32 exec_lo, exec_lo, s29
	s_mov_b32 s13, 0
.LBB6_498:                              ;   in Loop: Header=BB6_144 Depth=2
	s_delay_alu instid0(SALU_CYCLE_1)
	s_and_not1_b32 vcc_lo, exec_lo, s13
	s_cbranch_vccnz .LBB6_504
; %bb.499:                              ;   in Loop: Header=BB6_144 Depth=2
	s_and_saveexec_b32 s13, s28
	s_cbranch_execz .LBB6_503
; %bb.500:                              ;   in Loop: Header=BB6_144 Depth=2
	s_or_b32 s12, s11, s12
	s_delay_alu instid0(SALU_CYCLE_1)
	s_and_saveexec_b32 s28, s12
; %bb.501:                              ;   in Loop: Header=BB6_144 Depth=2
	v_lshrrev_b32_e32 v12, 16, v161
	v_cmp_lt_u16_e64 vcc_lo, 0x7c00, v151
	s_delay_alu instid0(VALU_DEP_2) | instskip(NEXT) | instid1(VALU_DEP_2)
	v_cmp_gt_f16_e64 s12, v161, v12
	s_and_b32 s11, s11, vcc_lo
	s_delay_alu instid0(VALU_DEP_1) | instskip(NEXT) | instid1(VALU_DEP_1)
	v_cndmask_b32_e64 v12, v161, v12, s12
	v_cndmask_b32_e64 v16, v12, 0x7fff, s11
; %bb.502:                              ;   in Loop: Header=BB6_144 Depth=2
	s_or_b32 exec_lo, exec_lo, s28
	s_delay_alu instid0(VALU_DEP_1)
	v_mov_b32_e32 v160, v16
.LBB6_503:                              ;   in Loop: Header=BB6_144 Depth=2
	s_or_b32 exec_lo, exec_lo, s13
	s_delay_alu instid0(VALU_DEP_1)
	v_mov_b32_e32 v12, v160
.LBB6_504:                              ;   in Loop: Header=BB6_144 Depth=2
	v_and_b32_e32 v16, 0x7fff, v17
	v_and_b32_e32 v151, 0x7fff, v13
	v_perm_b32 v160, v13, v17, 0x5040100
	s_mov_b32 s13, -1
	s_and_not1_b32 vcc_lo, exec_lo, s27
	v_cmp_lt_u16_e64 s11, 0x7c00, v16
	v_cmp_gt_u16_e64 s12, 0x7c01, v151
                                        ; implicit-def: $vgpr16
	s_delay_alu instid0(VALU_DEP_1) | instskip(NEXT) | instid1(SALU_CYCLE_1)
	s_and_b32 s28, s11, s12
	s_xor_b32 s28, s28, -1
	s_cbranch_vccnz .LBB6_510
; %bb.505:                              ;   in Loop: Header=BB6_144 Depth=2
	v_mov_b32_e32 v16, v13
	s_and_saveexec_b32 s29, s28
	s_cbranch_execz .LBB6_509
; %bb.506:                              ;   in Loop: Header=BB6_144 Depth=2
	v_mov_b32_e32 v16, v17
	s_or_b32 s13, s11, s12
	s_delay_alu instid0(SALU_CYCLE_1)
	s_and_saveexec_b32 vcc_hi, s13
; %bb.507:                              ;   in Loop: Header=BB6_144 Depth=2
	v_lshrrev_b32_e32 v16, 16, v160
	v_cmp_lt_u16_e64 vcc_lo, 0x7c00, v151
	s_delay_alu instid0(VALU_DEP_2) | instskip(NEXT) | instid1(VALU_DEP_1)
	v_cmp_gt_f16_e64 s13, v160, v16
	v_cndmask_b32_e64 v16, v16, v160, s13
	s_delay_alu instid0(VALU_DEP_3)
	s_and_b32 s13, s11, vcc_lo
	s_delay_alu instid0(VALU_DEP_1) | instid1(SALU_CYCLE_1)
	v_cndmask_b32_e64 v16, v16, 0x7fff, s13
; %bb.508:                              ;   in Loop: Header=BB6_144 Depth=2
	s_or_b32 exec_lo, exec_lo, vcc_hi
.LBB6_509:                              ;   in Loop: Header=BB6_144 Depth=2
	s_delay_alu instid0(SALU_CYCLE_1)
	s_or_b32 exec_lo, exec_lo, s29
	s_mov_b32 s13, 0
.LBB6_510:                              ;   in Loop: Header=BB6_144 Depth=2
	s_delay_alu instid0(SALU_CYCLE_1)
	s_and_not1_b32 vcc_lo, exec_lo, s13
	s_cbranch_vccnz .LBB6_516
; %bb.511:                              ;   in Loop: Header=BB6_144 Depth=2
	v_mov_b32_e32 v16, v13
	s_and_saveexec_b32 s13, s28
	s_cbranch_execz .LBB6_515
; %bb.512:                              ;   in Loop: Header=BB6_144 Depth=2
	v_mov_b32_e32 v16, v17
	s_or_b32 s12, s11, s12
	s_delay_alu instid0(SALU_CYCLE_1)
	s_and_saveexec_b32 s28, s12
; %bb.513:                              ;   in Loop: Header=BB6_144 Depth=2
	v_lshrrev_b32_e32 v16, 16, v160
	v_cmp_lt_u16_e64 vcc_lo, 0x7c00, v151
	s_delay_alu instid0(VALU_DEP_2) | instskip(NEXT) | instid1(VALU_DEP_2)
	v_cmp_gt_f16_e64 s12, v160, v16
	s_and_b32 s11, s11, vcc_lo
	s_delay_alu instid0(VALU_DEP_1) | instskip(NEXT) | instid1(VALU_DEP_1)
	v_cndmask_b32_e64 v16, v160, v16, s12
	v_cndmask_b32_e64 v16, v16, 0x7fff, s11
; %bb.514:                              ;   in Loop: Header=BB6_144 Depth=2
	s_or_b32 exec_lo, exec_lo, s28
.LBB6_515:                              ;   in Loop: Header=BB6_144 Depth=2
	s_delay_alu instid0(SALU_CYCLE_1)
	s_or_b32 exec_lo, exec_lo, s13
.LBB6_516:                              ;   in Loop: Header=BB6_144 Depth=2
	v_lshrrev_b32_e32 v151, 16, v17
	v_lshrrev_b32_e32 v161, 16, v13
	v_perm_b32 v17, v13, v17, 0x7060302
	s_mov_b32 s13, -1
	s_and_not1_b32 vcc_lo, exec_lo, s27
	v_and_b32_e32 v162, 0x7fff, v151
	v_and_b32_e32 v160, 0x7fff, v161
                                        ; implicit-def: $vgpr13
	s_delay_alu instid0(VALU_DEP_2) | instskip(NEXT) | instid1(VALU_DEP_2)
	v_cmp_lt_u16_e64 s11, 0x7c00, v162
	v_cmp_gt_u16_e64 s12, 0x7c01, v160
	s_delay_alu instid0(VALU_DEP_1) | instskip(NEXT) | instid1(SALU_CYCLE_1)
	s_and_b32 s28, s11, s12
	s_xor_b32 s28, s28, -1
	s_cbranch_vccnz .LBB6_522
; %bb.517:                              ;   in Loop: Header=BB6_144 Depth=2
	v_mov_b32_e32 v13, v161
	s_and_saveexec_b32 s29, s28
	s_cbranch_execz .LBB6_521
; %bb.518:                              ;   in Loop: Header=BB6_144 Depth=2
	v_mov_b32_e32 v13, v151
	s_or_b32 s13, s11, s12
	s_delay_alu instid0(SALU_CYCLE_1)
	s_and_saveexec_b32 vcc_hi, s13
; %bb.519:                              ;   in Loop: Header=BB6_144 Depth=2
	v_lshrrev_b32_e32 v13, 16, v17
	v_cmp_lt_u16_e64 vcc_lo, 0x7c00, v160
	s_delay_alu instid0(VALU_DEP_2) | instskip(NEXT) | instid1(VALU_DEP_1)
	v_cmp_gt_f16_e64 s13, v17, v13
	v_cndmask_b32_e64 v13, v13, v17, s13
	s_delay_alu instid0(VALU_DEP_3)
	s_and_b32 s13, s11, vcc_lo
	s_delay_alu instid0(VALU_DEP_1) | instid1(SALU_CYCLE_1)
	v_cndmask_b32_e64 v13, v13, 0x7fff, s13
; %bb.520:                              ;   in Loop: Header=BB6_144 Depth=2
	s_or_b32 exec_lo, exec_lo, vcc_hi
.LBB6_521:                              ;   in Loop: Header=BB6_144 Depth=2
	s_delay_alu instid0(SALU_CYCLE_1)
	s_or_b32 exec_lo, exec_lo, s29
	s_mov_b32 s13, 0
.LBB6_522:                              ;   in Loop: Header=BB6_144 Depth=2
	s_delay_alu instid0(SALU_CYCLE_1)
	s_and_not1_b32 vcc_lo, exec_lo, s13
	s_cbranch_vccnz .LBB6_143
; %bb.523:                              ;   in Loop: Header=BB6_144 Depth=2
	s_and_saveexec_b32 s13, s28
	s_cbranch_execz .LBB6_142
; %bb.524:                              ;   in Loop: Header=BB6_144 Depth=2
	s_or_b32 s12, s11, s12
	s_delay_alu instid0(SALU_CYCLE_1)
	s_and_saveexec_b32 s28, s12
	s_cbranch_execz .LBB6_141
; %bb.525:                              ;   in Loop: Header=BB6_144 Depth=2
	v_lshrrev_b32_e32 v13, 16, v17
	v_cmp_lt_u16_e64 vcc_lo, 0x7c00, v160
	s_delay_alu instid0(VALU_DEP_2) | instskip(NEXT) | instid1(VALU_DEP_2)
	v_cmp_gt_f16_e64 s12, v17, v13
	s_and_b32 s11, s11, vcc_lo
	s_delay_alu instid0(VALU_DEP_1) | instskip(NEXT) | instid1(VALU_DEP_1)
	v_cndmask_b32_e64 v13, v17, v13, s12
	v_cndmask_b32_e64 v151, v13, 0x7fff, s11
	s_branch .LBB6_141
.LBB6_526:                              ;   in Loop: Header=BB6_53 Depth=1
	s_or_b32 exec_lo, exec_lo, s26
.LBB6_527:                              ;   in Loop: Header=BB6_53 Depth=1
	s_delay_alu instid0(SALU_CYCLE_1) | instskip(SKIP_4) | instid1(VALU_DEP_2)
	s_or_b32 exec_lo, exec_lo, s14
	v_lshlrev_b32_e32 v24, 11, v149
	v_mov_b32_e32 v16, 0
	s_mov_b32 s11, 0
	s_mov_b32 s26, exec_lo
                                        ; implicit-def: $vgpr17
                                        ; implicit-def: $vgpr10
	v_cmpx_ne_u32_e64 v147, v24
	s_cbranch_execz .LBB6_632
; %bb.528:                              ;   in Loop: Header=BB6_53 Depth=1
	v_lshlrev_b32_e32 v10, 5, v148
	v_sub_nc_u32_e32 v12, v147, v24
	s_mov_b32 s27, exec_lo
	s_delay_alu instid0(VALU_DEP_2) | instskip(NEXT) | instid1(VALU_DEP_2)
	v_sub_nc_u32_e32 v10, v117, v10
	v_ashrrev_i32_e32 v13, 31, v12
	s_delay_alu instid0(VALU_DEP_2) | instskip(NEXT) | instid1(VALU_DEP_2)
	v_ashrrev_i32_e32 v11, 31, v10
	v_lshrrev_b32_e32 v13, 23, v13
	s_delay_alu instid0(VALU_DEP_2) | instskip(NEXT) | instid1(VALU_DEP_2)
	v_lshrrev_b32_e32 v11, 27, v11
	v_add_nc_u32_e32 v13, v12, v13
	s_delay_alu instid0(VALU_DEP_2) | instskip(NEXT) | instid1(VALU_DEP_2)
	v_add_nc_u32_e32 v11, v10, v11
	v_and_b32_e32 v25, 0xfffffe00, v13
	v_ashrrev_i32_e32 v13, 9, v13
	s_delay_alu instid0(VALU_DEP_3) | instskip(NEXT) | instid1(VALU_DEP_3)
	v_and_b32_e32 v14, 0xffffffe0, v11
	v_sub_nc_u32_e32 v27, v12, v25
	v_ashrrev_i32_e32 v11, 5, v11
	s_delay_alu instid0(VALU_DEP_3) | instskip(NEXT) | instid1(VALU_DEP_3)
	v_sub_nc_u32_e32 v26, v10, v14
	v_cmp_lt_i32_e64 s11, 15, v27
	s_delay_alu instid0(VALU_DEP_2) | instskip(NEXT) | instid1(VALU_DEP_2)
	v_lshlrev_b32_e32 v10, 4, v26
	v_add_co_ci_u32_e64 v13, vcc_lo, 0, v13, s11
	s_delay_alu instid0(VALU_DEP_2) | instskip(NEXT) | instid1(VALU_DEP_2)
	v_lshl_add_u32 v10, v11, 9, v10
	v_sub_nc_u32_e32 v28, v13, v11
	s_delay_alu instid0(VALU_DEP_2) | instskip(NEXT) | instid1(VALU_DEP_1)
	v_sub_nc_u32_e32 v29, v12, v10
	v_cmpx_lt_i32_e32 15, v29
	s_cbranch_execz .LBB6_629
; %bb.529:                              ;   in Loop: Header=BB6_53 Depth=1
	s_cbranch_execnz .LBB6_2286
; %bb.530:                              ;   in Loop: Header=BB6_53 Depth=1
	ds_load_b128 v[11:14], v0
	ds_load_b64 v[15:16], v0
	v_add_nc_u32_e32 v10, v10, v24
	s_bitcmp1_b32 s25, 0
	s_mov_b32 s28, 0
	s_cselect_b32 s29, -1, 0
	s_delay_alu instid0(VALU_DEP_1) | instskip(SKIP_2) | instid1(VALU_DEP_2)
	v_ashrrev_i32_e32 v17, 31, v10
	s_waitcnt lgkmcnt(1)
	v_add_co_u32 v18, vcc_lo, v11, v10
	v_add_co_ci_u32_e32 v19, vcc_lo, v12, v17, vcc_lo
	v_add_co_u32 v20, vcc_lo, v13, v10
	v_add_co_ci_u32_e32 v21, vcc_lo, v14, v17, vcc_lo
	s_waitcnt lgkmcnt(0)
	v_add_co_u32 v22, vcc_lo, v15, v10
	v_add_co_ci_u32_e32 v23, vcc_lo, v16, v17, vcc_lo
	s_branch .LBB6_534
.LBB6_531:                              ;   in Loop: Header=BB6_534 Depth=2
	s_or_b32 exec_lo, exec_lo, vcc_hi
	s_delay_alu instid0(VALU_DEP_1)
	v_mov_b32_e32 v35, v33
.LBB6_532:                              ;   in Loop: Header=BB6_534 Depth=2
	s_or_b32 exec_lo, exec_lo, s14
	s_delay_alu instid0(VALU_DEP_1)
	v_mov_b32_e32 v17, v35
.LBB6_533:                              ;   in Loop: Header=BB6_534 Depth=2
	v_lshlrev_b32_e32 v10, 16, v10
	v_and_b32_e32 v13, 0xffff, v32
	v_lshlrev_b32_e32 v16, 16, v16
	v_and_b32_e32 v15, 0xffff, v15
	;; [unrolled: 2-line block ×3, first 2 shown]
	v_or_b32_e32 v10, v10, v13
	v_lshlrev_b32_e32 v13, 16, v17
	v_and_b32_e32 v12, 0xffff, v12
	v_or_b32_e32 v15, v16, v15
	v_add_co_u32 v18, vcc_lo, v18, v131
	v_or3_b32 v11, v14, v11, 0
	v_or3_b32 v10, 0, 0, v10
	v_or3_b32 v13, v13, v12, 0
	v_or3_b32 v12, 0, 0, v15
	v_sub_nc_u32_e32 v29, v29, v116
	v_add_co_ci_u32_e32 v19, vcc_lo, v19, v132, vcc_lo
	v_add_co_u32 v20, vcc_lo, v20, v131
	v_add_co_ci_u32_e32 v21, vcc_lo, v21, v132, vcc_lo
	global_store_b128 v[22:23], v[10:13], off glc slc dlc
	v_cmp_gt_i32_e32 vcc_lo, 16, v29
	v_add_co_u32 v22, s12, v22, v131
	s_delay_alu instid0(VALU_DEP_1) | instskip(SKIP_2) | instid1(SALU_CYCLE_1)
	v_add_co_ci_u32_e64 v23, s12, v23, v132, s12
	v_sub_nc_u32_e32 v28, v28, v114
	s_or_b32 s28, vcc_lo, s28
	s_and_not1_b32 exec_lo, exec_lo, s28
	s_cbranch_execz .LBB6_628
.LBB6_534:                              ;   Parent Loop BB6_53 Depth=1
                                        ; =>  This Inner Loop Header: Depth=2
	global_load_b128 v[14:17], v[18:19], off slc dlc
	global_load_b128 v[10:13], v[20:21], off slc dlc
	s_mov_b32 s14, -1
	s_and_b32 vcc_lo, exec_lo, s29
	s_waitcnt vmcnt(1)
	v_and_b32_e32 v32, 0x7fff, v14
	s_waitcnt vmcnt(0)
	v_and_b32_e32 v33, 0x7fff, v10
	v_perm_b32 v34, v10, v14, 0x5040100
	s_delay_alu instid0(VALU_DEP_3) | instskip(NEXT) | instid1(VALU_DEP_3)
	v_cmp_lt_u16_e64 s12, 0x7c00, v32
	v_cmp_gt_u16_e64 s13, 0x7c01, v33
                                        ; implicit-def: $vgpr32
	s_delay_alu instid0(VALU_DEP_1) | instskip(NEXT) | instid1(SALU_CYCLE_1)
	s_and_b32 vcc_hi, s12, s13
	s_xor_b32 vcc_hi, vcc_hi, -1
	s_cbranch_vccz .LBB6_540
; %bb.535:                              ;   in Loop: Header=BB6_534 Depth=2
	v_mov_b32_e32 v32, v10
	s_and_saveexec_b32 s30, vcc_hi
	s_cbranch_execz .LBB6_539
; %bb.536:                              ;   in Loop: Header=BB6_534 Depth=2
	v_mov_b32_e32 v32, v14
	s_or_b32 s14, s12, s13
	s_delay_alu instid0(SALU_CYCLE_1)
	s_and_saveexec_b32 s31, s14
; %bb.537:                              ;   in Loop: Header=BB6_534 Depth=2
	v_lshrrev_b32_e32 v32, 16, v34
	v_cmp_lt_u16_e32 vcc_lo, 0x7c00, v33
	s_delay_alu instid0(VALU_DEP_2) | instskip(NEXT) | instid1(VALU_DEP_1)
	v_cmp_gt_f16_e64 s14, v34, v32
	v_cndmask_b32_e64 v32, v32, v34, s14
	s_and_b32 s14, s12, vcc_lo
	s_delay_alu instid0(VALU_DEP_1) | instid1(SALU_CYCLE_1)
	v_cndmask_b32_e64 v32, v32, 0x7fff, s14
; %bb.538:                              ;   in Loop: Header=BB6_534 Depth=2
	s_or_b32 exec_lo, exec_lo, s31
.LBB6_539:                              ;   in Loop: Header=BB6_534 Depth=2
	s_delay_alu instid0(SALU_CYCLE_1)
	s_or_b32 exec_lo, exec_lo, s30
	s_mov_b32 s14, 0
.LBB6_540:                              ;   in Loop: Header=BB6_534 Depth=2
	s_delay_alu instid0(SALU_CYCLE_1)
	s_and_not1_b32 vcc_lo, exec_lo, s14
	s_cbranch_vccnz .LBB6_546
; %bb.541:                              ;   in Loop: Header=BB6_534 Depth=2
	v_mov_b32_e32 v32, v10
	s_and_saveexec_b32 s14, vcc_hi
	s_cbranch_execz .LBB6_545
; %bb.542:                              ;   in Loop: Header=BB6_534 Depth=2
	v_mov_b32_e32 v32, v14
	s_or_b32 s13, s12, s13
	s_delay_alu instid0(SALU_CYCLE_1)
	s_and_saveexec_b32 vcc_hi, s13
; %bb.543:                              ;   in Loop: Header=BB6_534 Depth=2
	v_lshrrev_b32_e32 v32, 16, v34
	v_cmp_lt_u16_e32 vcc_lo, 0x7c00, v33
	s_delay_alu instid0(VALU_DEP_2) | instskip(SKIP_1) | instid1(VALU_DEP_1)
	v_cmp_gt_f16_e64 s13, v34, v32
	s_and_b32 s12, s12, vcc_lo
	v_cndmask_b32_e64 v32, v34, v32, s13
	s_delay_alu instid0(VALU_DEP_1)
	v_cndmask_b32_e64 v32, v32, 0x7fff, s12
; %bb.544:                              ;   in Loop: Header=BB6_534 Depth=2
	s_or_b32 exec_lo, exec_lo, vcc_hi
.LBB6_545:                              ;   in Loop: Header=BB6_534 Depth=2
	s_delay_alu instid0(SALU_CYCLE_1)
	s_or_b32 exec_lo, exec_lo, s14
.LBB6_546:                              ;   in Loop: Header=BB6_534 Depth=2
	v_mov_b32_e32 v36, v14
	v_mov_b32_e32 v14, v15
	;; [unrolled: 1-line block ×3, first 2 shown]
	s_mov_b32 s14, -1
	s_and_b32 vcc_lo, exec_lo, s29
	v_lshrrev_b32_e32 v33, 16, v36
	s_delay_alu instid0(VALU_DEP_1) | instskip(NEXT) | instid1(VALU_DEP_1)
	v_dual_mov_b32 v37, v10 :: v_dual_and_b32 v10, 0x7fff, v33
	v_lshrrev_b32_e32 v35, 16, v37
	v_perm_b32 v11, v37, v36, 0x7060302
	s_delay_alu instid0(VALU_DEP_3) | instskip(NEXT) | instid1(VALU_DEP_3)
	v_cmp_lt_u16_e64 s12, 0x7c00, v10
	v_and_b32_e32 v34, 0x7fff, v35
                                        ; implicit-def: $vgpr10
	s_delay_alu instid0(VALU_DEP_1) | instskip(NEXT) | instid1(VALU_DEP_1)
	v_cmp_gt_u16_e64 s13, 0x7c01, v34
	s_and_b32 vcc_hi, s12, s13
	s_delay_alu instid0(SALU_CYCLE_1)
	s_xor_b32 vcc_hi, vcc_hi, -1
	s_cbranch_vccz .LBB6_552
; %bb.547:                              ;   in Loop: Header=BB6_534 Depth=2
	v_mov_b32_e32 v10, v35
	s_and_saveexec_b32 s30, vcc_hi
	s_cbranch_execz .LBB6_551
; %bb.548:                              ;   in Loop: Header=BB6_534 Depth=2
	v_mov_b32_e32 v10, v33
	s_or_b32 s14, s12, s13
	s_delay_alu instid0(SALU_CYCLE_1)
	s_and_saveexec_b32 s31, s14
; %bb.549:                              ;   in Loop: Header=BB6_534 Depth=2
	v_lshrrev_b32_e32 v10, 16, v11
	v_cmp_lt_u16_e32 vcc_lo, 0x7c00, v34
	s_delay_alu instid0(VALU_DEP_2) | instskip(NEXT) | instid1(VALU_DEP_1)
	v_cmp_gt_f16_e64 s14, v11, v10
	v_cndmask_b32_e64 v10, v10, v11, s14
	s_and_b32 s14, s12, vcc_lo
	s_delay_alu instid0(VALU_DEP_1) | instid1(SALU_CYCLE_1)
	v_cndmask_b32_e64 v10, v10, 0x7fff, s14
; %bb.550:                              ;   in Loop: Header=BB6_534 Depth=2
	s_or_b32 exec_lo, exec_lo, s31
.LBB6_551:                              ;   in Loop: Header=BB6_534 Depth=2
	s_delay_alu instid0(SALU_CYCLE_1)
	s_or_b32 exec_lo, exec_lo, s30
	s_mov_b32 s14, 0
.LBB6_552:                              ;   in Loop: Header=BB6_534 Depth=2
	s_delay_alu instid0(SALU_CYCLE_1)
	s_and_not1_b32 vcc_lo, exec_lo, s14
	s_cbranch_vccnz .LBB6_558
; %bb.553:                              ;   in Loop: Header=BB6_534 Depth=2
	s_and_saveexec_b32 s14, vcc_hi
	s_cbranch_execz .LBB6_557
; %bb.554:                              ;   in Loop: Header=BB6_534 Depth=2
	s_or_b32 s13, s12, s13
	s_delay_alu instid0(SALU_CYCLE_1)
	s_and_saveexec_b32 vcc_hi, s13
; %bb.555:                              ;   in Loop: Header=BB6_534 Depth=2
	v_lshrrev_b32_e32 v10, 16, v11
	v_cmp_lt_u16_e32 vcc_lo, 0x7c00, v34
	s_delay_alu instid0(VALU_DEP_2) | instskip(SKIP_1) | instid1(VALU_DEP_1)
	v_cmp_gt_f16_e64 s13, v11, v10
	s_and_b32 s12, s12, vcc_lo
	v_cndmask_b32_e64 v10, v11, v10, s13
	s_delay_alu instid0(VALU_DEP_1)
	v_cndmask_b32_e64 v33, v10, 0x7fff, s12
; %bb.556:                              ;   in Loop: Header=BB6_534 Depth=2
	s_or_b32 exec_lo, exec_lo, vcc_hi
	s_delay_alu instid0(VALU_DEP_1)
	v_mov_b32_e32 v35, v33
.LBB6_557:                              ;   in Loop: Header=BB6_534 Depth=2
	s_or_b32 exec_lo, exec_lo, s14
	s_delay_alu instid0(VALU_DEP_1)
	v_mov_b32_e32 v10, v35
.LBB6_558:                              ;   in Loop: Header=BB6_534 Depth=2
	v_and_b32_e32 v11, 0x7fff, v14
	v_and_b32_e32 v33, 0x7fff, v15
	v_perm_b32 v34, v15, v14, 0x5040100
	s_mov_b32 s14, -1
	s_and_b32 vcc_lo, exec_lo, s29
	v_cmp_lt_u16_e64 s12, 0x7c00, v11
	v_cmp_gt_u16_e64 s13, 0x7c01, v33
                                        ; implicit-def: $vgpr11
	s_delay_alu instid0(VALU_DEP_1) | instskip(NEXT) | instid1(SALU_CYCLE_1)
	s_and_b32 vcc_hi, s12, s13
	s_xor_b32 vcc_hi, vcc_hi, -1
	s_cbranch_vccz .LBB6_564
; %bb.559:                              ;   in Loop: Header=BB6_534 Depth=2
	v_mov_b32_e32 v11, v15
	s_and_saveexec_b32 s30, vcc_hi
	s_cbranch_execz .LBB6_563
; %bb.560:                              ;   in Loop: Header=BB6_534 Depth=2
	v_mov_b32_e32 v11, v14
	s_or_b32 s14, s12, s13
	s_delay_alu instid0(SALU_CYCLE_1)
	s_and_saveexec_b32 s31, s14
; %bb.561:                              ;   in Loop: Header=BB6_534 Depth=2
	v_lshrrev_b32_e32 v11, 16, v34
	v_cmp_lt_u16_e32 vcc_lo, 0x7c00, v33
	s_delay_alu instid0(VALU_DEP_2) | instskip(NEXT) | instid1(VALU_DEP_1)
	v_cmp_gt_f16_e64 s14, v34, v11
	v_cndmask_b32_e64 v11, v11, v34, s14
	s_and_b32 s14, s12, vcc_lo
	s_delay_alu instid0(VALU_DEP_1) | instid1(SALU_CYCLE_1)
	v_cndmask_b32_e64 v11, v11, 0x7fff, s14
; %bb.562:                              ;   in Loop: Header=BB6_534 Depth=2
	s_or_b32 exec_lo, exec_lo, s31
.LBB6_563:                              ;   in Loop: Header=BB6_534 Depth=2
	s_delay_alu instid0(SALU_CYCLE_1)
	s_or_b32 exec_lo, exec_lo, s30
	s_mov_b32 s14, 0
.LBB6_564:                              ;   in Loop: Header=BB6_534 Depth=2
	s_delay_alu instid0(SALU_CYCLE_1)
	s_and_not1_b32 vcc_lo, exec_lo, s14
	s_cbranch_vccnz .LBB6_570
; %bb.565:                              ;   in Loop: Header=BB6_534 Depth=2
	v_mov_b32_e32 v11, v15
	s_and_saveexec_b32 s14, vcc_hi
	s_cbranch_execz .LBB6_569
; %bb.566:                              ;   in Loop: Header=BB6_534 Depth=2
	v_mov_b32_e32 v11, v14
	s_or_b32 s13, s12, s13
	s_delay_alu instid0(SALU_CYCLE_1)
	s_and_saveexec_b32 vcc_hi, s13
; %bb.567:                              ;   in Loop: Header=BB6_534 Depth=2
	v_lshrrev_b32_e32 v11, 16, v34
	v_cmp_lt_u16_e32 vcc_lo, 0x7c00, v33
	s_delay_alu instid0(VALU_DEP_2) | instskip(SKIP_1) | instid1(VALU_DEP_1)
	v_cmp_gt_f16_e64 s13, v34, v11
	s_and_b32 s12, s12, vcc_lo
	v_cndmask_b32_e64 v11, v34, v11, s13
	s_delay_alu instid0(VALU_DEP_1)
	v_cndmask_b32_e64 v11, v11, 0x7fff, s12
; %bb.568:                              ;   in Loop: Header=BB6_534 Depth=2
	s_or_b32 exec_lo, exec_lo, vcc_hi
.LBB6_569:                              ;   in Loop: Header=BB6_534 Depth=2
	s_delay_alu instid0(SALU_CYCLE_1)
	s_or_b32 exec_lo, exec_lo, s14
.LBB6_570:                              ;   in Loop: Header=BB6_534 Depth=2
	v_lshrrev_b32_e32 v33, 16, v14
	v_lshrrev_b32_e32 v35, 16, v15
	v_perm_b32 v15, v15, v14, 0x7060302
	s_mov_b32 s14, -1
	s_and_b32 vcc_lo, exec_lo, s29
	v_and_b32_e32 v36, 0x7fff, v33
	v_and_b32_e32 v34, 0x7fff, v35
                                        ; implicit-def: $vgpr14
	s_delay_alu instid0(VALU_DEP_2) | instskip(NEXT) | instid1(VALU_DEP_2)
	v_cmp_lt_u16_e64 s12, 0x7c00, v36
	v_cmp_gt_u16_e64 s13, 0x7c01, v34
	s_delay_alu instid0(VALU_DEP_1) | instskip(NEXT) | instid1(SALU_CYCLE_1)
	s_and_b32 vcc_hi, s12, s13
	s_xor_b32 vcc_hi, vcc_hi, -1
	s_cbranch_vccz .LBB6_576
; %bb.571:                              ;   in Loop: Header=BB6_534 Depth=2
	v_mov_b32_e32 v14, v35
	s_and_saveexec_b32 s30, vcc_hi
	s_cbranch_execz .LBB6_575
; %bb.572:                              ;   in Loop: Header=BB6_534 Depth=2
	v_mov_b32_e32 v14, v33
	s_or_b32 s14, s12, s13
	s_delay_alu instid0(SALU_CYCLE_1)
	s_and_saveexec_b32 s31, s14
; %bb.573:                              ;   in Loop: Header=BB6_534 Depth=2
	v_lshrrev_b32_e32 v14, 16, v15
	v_cmp_lt_u16_e32 vcc_lo, 0x7c00, v34
	s_delay_alu instid0(VALU_DEP_2) | instskip(NEXT) | instid1(VALU_DEP_1)
	v_cmp_gt_f16_e64 s14, v15, v14
	v_cndmask_b32_e64 v14, v14, v15, s14
	s_and_b32 s14, s12, vcc_lo
	s_delay_alu instid0(VALU_DEP_1) | instid1(SALU_CYCLE_1)
	v_cndmask_b32_e64 v14, v14, 0x7fff, s14
; %bb.574:                              ;   in Loop: Header=BB6_534 Depth=2
	s_or_b32 exec_lo, exec_lo, s31
.LBB6_575:                              ;   in Loop: Header=BB6_534 Depth=2
	s_delay_alu instid0(SALU_CYCLE_1)
	s_or_b32 exec_lo, exec_lo, s30
	s_mov_b32 s14, 0
.LBB6_576:                              ;   in Loop: Header=BB6_534 Depth=2
	s_delay_alu instid0(SALU_CYCLE_1)
	s_and_not1_b32 vcc_lo, exec_lo, s14
	s_cbranch_vccnz .LBB6_582
; %bb.577:                              ;   in Loop: Header=BB6_534 Depth=2
	s_and_saveexec_b32 s14, vcc_hi
	s_cbranch_execz .LBB6_581
; %bb.578:                              ;   in Loop: Header=BB6_534 Depth=2
	s_or_b32 s13, s12, s13
	s_delay_alu instid0(SALU_CYCLE_1)
	s_and_saveexec_b32 vcc_hi, s13
; %bb.579:                              ;   in Loop: Header=BB6_534 Depth=2
	v_lshrrev_b32_e32 v14, 16, v15
	v_cmp_lt_u16_e32 vcc_lo, 0x7c00, v34
	s_delay_alu instid0(VALU_DEP_2) | instskip(SKIP_1) | instid1(VALU_DEP_1)
	v_cmp_gt_f16_e64 s13, v15, v14
	s_and_b32 s12, s12, vcc_lo
	v_cndmask_b32_e64 v14, v15, v14, s13
	s_delay_alu instid0(VALU_DEP_1)
	v_cndmask_b32_e64 v33, v14, 0x7fff, s12
; %bb.580:                              ;   in Loop: Header=BB6_534 Depth=2
	s_or_b32 exec_lo, exec_lo, vcc_hi
	s_delay_alu instid0(VALU_DEP_1)
	v_mov_b32_e32 v35, v33
.LBB6_581:                              ;   in Loop: Header=BB6_534 Depth=2
	s_or_b32 exec_lo, exec_lo, s14
	s_delay_alu instid0(VALU_DEP_1)
	v_mov_b32_e32 v14, v35
.LBB6_582:                              ;   in Loop: Header=BB6_534 Depth=2
	v_and_b32_e32 v15, 0x7fff, v16
	v_and_b32_e32 v33, 0x7fff, v12
	v_perm_b32 v34, v12, v16, 0x5040100
	s_mov_b32 s14, -1
	s_and_b32 vcc_lo, exec_lo, s29
	v_cmp_lt_u16_e64 s12, 0x7c00, v15
	v_cmp_gt_u16_e64 s13, 0x7c01, v33
                                        ; implicit-def: $vgpr15
	s_delay_alu instid0(VALU_DEP_1) | instskip(NEXT) | instid1(SALU_CYCLE_1)
	s_and_b32 vcc_hi, s12, s13
	s_xor_b32 vcc_hi, vcc_hi, -1
	s_cbranch_vccz .LBB6_588
; %bb.583:                              ;   in Loop: Header=BB6_534 Depth=2
	v_mov_b32_e32 v15, v12
	s_and_saveexec_b32 s30, vcc_hi
	s_cbranch_execz .LBB6_587
; %bb.584:                              ;   in Loop: Header=BB6_534 Depth=2
	v_mov_b32_e32 v15, v16
	s_or_b32 s14, s12, s13
	s_delay_alu instid0(SALU_CYCLE_1)
	s_and_saveexec_b32 s31, s14
; %bb.585:                              ;   in Loop: Header=BB6_534 Depth=2
	v_lshrrev_b32_e32 v15, 16, v34
	v_cmp_lt_u16_e32 vcc_lo, 0x7c00, v33
	s_delay_alu instid0(VALU_DEP_2) | instskip(NEXT) | instid1(VALU_DEP_1)
	v_cmp_gt_f16_e64 s14, v34, v15
	v_cndmask_b32_e64 v15, v15, v34, s14
	s_and_b32 s14, s12, vcc_lo
	s_delay_alu instid0(VALU_DEP_1) | instid1(SALU_CYCLE_1)
	v_cndmask_b32_e64 v15, v15, 0x7fff, s14
; %bb.586:                              ;   in Loop: Header=BB6_534 Depth=2
	s_or_b32 exec_lo, exec_lo, s31
.LBB6_587:                              ;   in Loop: Header=BB6_534 Depth=2
	s_delay_alu instid0(SALU_CYCLE_1)
	s_or_b32 exec_lo, exec_lo, s30
	s_mov_b32 s14, 0
.LBB6_588:                              ;   in Loop: Header=BB6_534 Depth=2
	s_delay_alu instid0(SALU_CYCLE_1)
	s_and_not1_b32 vcc_lo, exec_lo, s14
	s_cbranch_vccnz .LBB6_594
; %bb.589:                              ;   in Loop: Header=BB6_534 Depth=2
	v_mov_b32_e32 v15, v12
	s_and_saveexec_b32 s14, vcc_hi
	s_cbranch_execz .LBB6_593
; %bb.590:                              ;   in Loop: Header=BB6_534 Depth=2
	v_mov_b32_e32 v15, v16
	s_or_b32 s13, s12, s13
	s_delay_alu instid0(SALU_CYCLE_1)
	s_and_saveexec_b32 vcc_hi, s13
; %bb.591:                              ;   in Loop: Header=BB6_534 Depth=2
	v_lshrrev_b32_e32 v15, 16, v34
	v_cmp_lt_u16_e32 vcc_lo, 0x7c00, v33
	s_delay_alu instid0(VALU_DEP_2) | instskip(SKIP_1) | instid1(VALU_DEP_1)
	v_cmp_gt_f16_e64 s13, v34, v15
	s_and_b32 s12, s12, vcc_lo
	v_cndmask_b32_e64 v15, v34, v15, s13
	s_delay_alu instid0(VALU_DEP_1)
	v_cndmask_b32_e64 v15, v15, 0x7fff, s12
; %bb.592:                              ;   in Loop: Header=BB6_534 Depth=2
	s_or_b32 exec_lo, exec_lo, vcc_hi
.LBB6_593:                              ;   in Loop: Header=BB6_534 Depth=2
	s_delay_alu instid0(SALU_CYCLE_1)
	s_or_b32 exec_lo, exec_lo, s14
.LBB6_594:                              ;   in Loop: Header=BB6_534 Depth=2
	v_mov_b32_e32 v36, v16
	v_lshrrev_b32_e32 v35, 16, v12
	s_mov_b32 s14, -1
	s_and_b32 vcc_lo, exec_lo, s29
	s_delay_alu instid0(VALU_DEP_2) | instskip(NEXT) | instid1(VALU_DEP_2)
	v_lshrrev_b32_e32 v33, 16, v36
	v_and_b32_e32 v34, 0x7fff, v35
	v_perm_b32 v12, v12, v36, 0x7060302
	s_delay_alu instid0(VALU_DEP_3) | instskip(NEXT) | instid1(VALU_DEP_3)
	v_and_b32_e32 v16, 0x7fff, v33
	v_cmp_gt_u16_e64 s13, 0x7c01, v34
	s_delay_alu instid0(VALU_DEP_2) | instskip(NEXT) | instid1(VALU_DEP_1)
	v_cmp_lt_u16_e64 s12, 0x7c00, v16
                                        ; implicit-def: $vgpr16
	s_and_b32 vcc_hi, s12, s13
	s_delay_alu instid0(SALU_CYCLE_1)
	s_xor_b32 vcc_hi, vcc_hi, -1
	s_cbranch_vccz .LBB6_600
; %bb.595:                              ;   in Loop: Header=BB6_534 Depth=2
	v_mov_b32_e32 v16, v35
	s_and_saveexec_b32 s30, vcc_hi
	s_cbranch_execz .LBB6_599
; %bb.596:                              ;   in Loop: Header=BB6_534 Depth=2
	v_mov_b32_e32 v16, v33
	s_or_b32 s14, s12, s13
	s_delay_alu instid0(SALU_CYCLE_1)
	s_and_saveexec_b32 s31, s14
; %bb.597:                              ;   in Loop: Header=BB6_534 Depth=2
	v_lshrrev_b32_e32 v16, 16, v12
	v_cmp_lt_u16_e32 vcc_lo, 0x7c00, v34
	s_delay_alu instid0(VALU_DEP_2) | instskip(NEXT) | instid1(VALU_DEP_1)
	v_cmp_gt_f16_e64 s14, v12, v16
	v_cndmask_b32_e64 v16, v16, v12, s14
	s_and_b32 s14, s12, vcc_lo
	s_delay_alu instid0(VALU_DEP_1) | instid1(SALU_CYCLE_1)
	v_cndmask_b32_e64 v16, v16, 0x7fff, s14
; %bb.598:                              ;   in Loop: Header=BB6_534 Depth=2
	s_or_b32 exec_lo, exec_lo, s31
.LBB6_599:                              ;   in Loop: Header=BB6_534 Depth=2
	s_delay_alu instid0(SALU_CYCLE_1)
	s_or_b32 exec_lo, exec_lo, s30
	s_mov_b32 s14, 0
.LBB6_600:                              ;   in Loop: Header=BB6_534 Depth=2
	s_delay_alu instid0(SALU_CYCLE_1)
	s_and_not1_b32 vcc_lo, exec_lo, s14
	s_cbranch_vccnz .LBB6_606
; %bb.601:                              ;   in Loop: Header=BB6_534 Depth=2
	s_and_saveexec_b32 s14, vcc_hi
	s_cbranch_execz .LBB6_605
; %bb.602:                              ;   in Loop: Header=BB6_534 Depth=2
	s_or_b32 s13, s12, s13
	s_delay_alu instid0(SALU_CYCLE_1)
	s_and_saveexec_b32 vcc_hi, s13
; %bb.603:                              ;   in Loop: Header=BB6_534 Depth=2
	v_lshrrev_b32_e32 v16, 16, v12
	v_cmp_lt_u16_e32 vcc_lo, 0x7c00, v34
	s_delay_alu instid0(VALU_DEP_2) | instskip(SKIP_1) | instid1(VALU_DEP_1)
	v_cmp_gt_f16_e64 s13, v12, v16
	s_and_b32 s12, s12, vcc_lo
	v_cndmask_b32_e64 v12, v12, v16, s13
	s_delay_alu instid0(VALU_DEP_1)
	v_cndmask_b32_e64 v33, v12, 0x7fff, s12
; %bb.604:                              ;   in Loop: Header=BB6_534 Depth=2
	s_or_b32 exec_lo, exec_lo, vcc_hi
	s_delay_alu instid0(VALU_DEP_1)
	v_mov_b32_e32 v35, v33
.LBB6_605:                              ;   in Loop: Header=BB6_534 Depth=2
	s_or_b32 exec_lo, exec_lo, s14
	s_delay_alu instid0(VALU_DEP_1)
	v_mov_b32_e32 v16, v35
.LBB6_606:                              ;   in Loop: Header=BB6_534 Depth=2
	v_and_b32_e32 v12, 0x7fff, v17
	v_and_b32_e32 v33, 0x7fff, v13
	v_perm_b32 v34, v13, v17, 0x5040100
	s_mov_b32 s14, -1
	s_and_b32 vcc_lo, exec_lo, s29
	v_cmp_lt_u16_e64 s12, 0x7c00, v12
	v_cmp_gt_u16_e64 s13, 0x7c01, v33
                                        ; implicit-def: $vgpr12
	s_delay_alu instid0(VALU_DEP_1) | instskip(NEXT) | instid1(SALU_CYCLE_1)
	s_and_b32 vcc_hi, s12, s13
	s_xor_b32 vcc_hi, vcc_hi, -1
	s_cbranch_vccz .LBB6_612
; %bb.607:                              ;   in Loop: Header=BB6_534 Depth=2
	v_mov_b32_e32 v12, v13
	s_and_saveexec_b32 s30, vcc_hi
	s_cbranch_execz .LBB6_611
; %bb.608:                              ;   in Loop: Header=BB6_534 Depth=2
	v_mov_b32_e32 v12, v17
	s_or_b32 s14, s12, s13
	s_delay_alu instid0(SALU_CYCLE_1)
	s_and_saveexec_b32 s31, s14
; %bb.609:                              ;   in Loop: Header=BB6_534 Depth=2
	v_lshrrev_b32_e32 v12, 16, v34
	v_cmp_lt_u16_e32 vcc_lo, 0x7c00, v33
	s_delay_alu instid0(VALU_DEP_2) | instskip(NEXT) | instid1(VALU_DEP_1)
	v_cmp_gt_f16_e64 s14, v34, v12
	v_cndmask_b32_e64 v12, v12, v34, s14
	s_and_b32 s14, s12, vcc_lo
	s_delay_alu instid0(VALU_DEP_1) | instid1(SALU_CYCLE_1)
	v_cndmask_b32_e64 v12, v12, 0x7fff, s14
; %bb.610:                              ;   in Loop: Header=BB6_534 Depth=2
	s_or_b32 exec_lo, exec_lo, s31
.LBB6_611:                              ;   in Loop: Header=BB6_534 Depth=2
	s_delay_alu instid0(SALU_CYCLE_1)
	s_or_b32 exec_lo, exec_lo, s30
	s_mov_b32 s14, 0
.LBB6_612:                              ;   in Loop: Header=BB6_534 Depth=2
	s_delay_alu instid0(SALU_CYCLE_1)
	s_and_not1_b32 vcc_lo, exec_lo, s14
	s_cbranch_vccnz .LBB6_618
; %bb.613:                              ;   in Loop: Header=BB6_534 Depth=2
	v_mov_b32_e32 v12, v13
	s_and_saveexec_b32 s14, vcc_hi
	s_cbranch_execz .LBB6_617
; %bb.614:                              ;   in Loop: Header=BB6_534 Depth=2
	v_mov_b32_e32 v12, v17
	s_or_b32 s13, s12, s13
	s_delay_alu instid0(SALU_CYCLE_1)
	s_and_saveexec_b32 vcc_hi, s13
; %bb.615:                              ;   in Loop: Header=BB6_534 Depth=2
	v_lshrrev_b32_e32 v12, 16, v34
	v_cmp_lt_u16_e32 vcc_lo, 0x7c00, v33
	s_delay_alu instid0(VALU_DEP_2) | instskip(SKIP_1) | instid1(VALU_DEP_1)
	v_cmp_gt_f16_e64 s13, v34, v12
	s_and_b32 s12, s12, vcc_lo
	v_cndmask_b32_e64 v12, v34, v12, s13
	s_delay_alu instid0(VALU_DEP_1)
	v_cndmask_b32_e64 v12, v12, 0x7fff, s12
; %bb.616:                              ;   in Loop: Header=BB6_534 Depth=2
	s_or_b32 exec_lo, exec_lo, vcc_hi
.LBB6_617:                              ;   in Loop: Header=BB6_534 Depth=2
	s_delay_alu instid0(SALU_CYCLE_1)
	s_or_b32 exec_lo, exec_lo, s14
.LBB6_618:                              ;   in Loop: Header=BB6_534 Depth=2
	v_lshrrev_b32_e32 v33, 16, v17
	v_lshrrev_b32_e32 v35, 16, v13
	v_perm_b32 v13, v13, v17, 0x7060302
	s_mov_b32 s14, -1
	s_and_b32 vcc_lo, exec_lo, s29
	v_and_b32_e32 v36, 0x7fff, v33
	v_and_b32_e32 v34, 0x7fff, v35
                                        ; implicit-def: $vgpr17
	s_delay_alu instid0(VALU_DEP_2) | instskip(NEXT) | instid1(VALU_DEP_2)
	v_cmp_lt_u16_e64 s12, 0x7c00, v36
	v_cmp_gt_u16_e64 s13, 0x7c01, v34
	s_delay_alu instid0(VALU_DEP_1) | instskip(NEXT) | instid1(SALU_CYCLE_1)
	s_and_b32 vcc_hi, s12, s13
	s_xor_b32 vcc_hi, vcc_hi, -1
	s_cbranch_vccz .LBB6_624
; %bb.619:                              ;   in Loop: Header=BB6_534 Depth=2
	v_mov_b32_e32 v17, v35
	s_and_saveexec_b32 s30, vcc_hi
	s_cbranch_execz .LBB6_623
; %bb.620:                              ;   in Loop: Header=BB6_534 Depth=2
	v_mov_b32_e32 v17, v33
	s_or_b32 s14, s12, s13
	s_delay_alu instid0(SALU_CYCLE_1)
	s_and_saveexec_b32 s31, s14
; %bb.621:                              ;   in Loop: Header=BB6_534 Depth=2
	v_lshrrev_b32_e32 v17, 16, v13
	v_cmp_lt_u16_e32 vcc_lo, 0x7c00, v34
	s_delay_alu instid0(VALU_DEP_2) | instskip(NEXT) | instid1(VALU_DEP_1)
	v_cmp_gt_f16_e64 s14, v13, v17
	v_cndmask_b32_e64 v17, v17, v13, s14
	s_and_b32 s14, s12, vcc_lo
	s_delay_alu instid0(VALU_DEP_1) | instid1(SALU_CYCLE_1)
	v_cndmask_b32_e64 v17, v17, 0x7fff, s14
; %bb.622:                              ;   in Loop: Header=BB6_534 Depth=2
	s_or_b32 exec_lo, exec_lo, s31
.LBB6_623:                              ;   in Loop: Header=BB6_534 Depth=2
	s_delay_alu instid0(SALU_CYCLE_1)
	s_or_b32 exec_lo, exec_lo, s30
	s_mov_b32 s14, 0
.LBB6_624:                              ;   in Loop: Header=BB6_534 Depth=2
	s_delay_alu instid0(SALU_CYCLE_1)
	s_and_not1_b32 vcc_lo, exec_lo, s14
	s_cbranch_vccnz .LBB6_533
; %bb.625:                              ;   in Loop: Header=BB6_534 Depth=2
	s_and_saveexec_b32 s14, vcc_hi
	s_cbranch_execz .LBB6_532
; %bb.626:                              ;   in Loop: Header=BB6_534 Depth=2
	s_or_b32 s13, s12, s13
	s_delay_alu instid0(SALU_CYCLE_1)
	s_and_saveexec_b32 vcc_hi, s13
	s_cbranch_execz .LBB6_531
; %bb.627:                              ;   in Loop: Header=BB6_534 Depth=2
	v_lshrrev_b32_e32 v17, 16, v13
	v_cmp_lt_u16_e32 vcc_lo, 0x7c00, v34
	s_delay_alu instid0(VALU_DEP_2) | instskip(SKIP_1) | instid1(VALU_DEP_1)
	v_cmp_gt_f16_e64 s13, v13, v17
	s_and_b32 s12, s12, vcc_lo
	v_cndmask_b32_e64 v13, v13, v17, s13
	s_delay_alu instid0(VALU_DEP_1)
	v_cndmask_b32_e64 v33, v13, 0x7fff, s12
	s_branch .LBB6_531
.LBB6_628:                              ;   in Loop: Header=BB6_53 Depth=1
	s_or_b32 exec_lo, exec_lo, s28
.LBB6_629:                              ;   in Loop: Header=BB6_53 Depth=1
	s_delay_alu instid0(SALU_CYCLE_1) | instskip(SKIP_3) | instid1(VALU_DEP_1)
	s_or_b32 exec_lo, exec_lo, s27
	v_dual_mov_b32 v16, 0 :: v_dual_and_b32 v11, 14, v147
	s_mov_b32 s12, 0
	s_mov_b32 s13, exec_lo
                                        ; implicit-def: $vgpr17
                                        ; implicit-def: $vgpr10
	v_cndmask_b32_e64 v147, v27, v11, s11
	s_delay_alu instid0(VALU_DEP_1)
	v_cmpx_ne_u32_e32 0, v147
	s_cbranch_execz .LBB6_631
; %bb.630:                              ;   in Loop: Header=BB6_53 Depth=1
	v_cmp_lt_i32_e32 vcc_lo, 0, v28
	v_sub_nc_u32_e32 v11, v27, v11
	s_mov_b32 s12, exec_lo
	v_cndmask_b32_e32 v10, 0, v114, vcc_lo
	s_delay_alu instid0(VALU_DEP_2) | instskip(NEXT) | instid1(VALU_DEP_2)
	v_cndmask_b32_e64 v11, 0, v11, s11
	v_sub_nc_u32_e32 v10, v10, v28
	s_delay_alu instid0(VALU_DEP_2) | instskip(NEXT) | instid1(VALU_DEP_2)
	v_add3_u32 v16, v25, v24, v11
	v_lshl_add_u32 v17, v10, 5, v26
	s_delay_alu instid0(VALU_DEP_1) | instskip(NEXT) | instid1(VALU_DEP_1)
	v_ashrrev_i32_e32 v10, 31, v17
	v_lshrrev_b32_e32 v10, 27, v10
	s_delay_alu instid0(VALU_DEP_1) | instskip(NEXT) | instid1(VALU_DEP_1)
	v_add_nc_u32_e32 v10, v17, v10
	v_ashrrev_i32_e32 v10, 5, v10
.LBB6_631:                              ;   in Loop: Header=BB6_53 Depth=1
	s_or_b32 exec_lo, exec_lo, s13
	s_delay_alu instid0(SALU_CYCLE_1)
	s_and_b32 s11, s12, exec_lo
.LBB6_632:                              ;   in Loop: Header=BB6_53 Depth=1
	s_or_b32 exec_lo, exec_lo, s26
.LBB6_633:                              ;   in Loop: Header=BB6_53 Depth=1
	s_and_saveexec_b32 s14, s11
	s_cbranch_execz .LBB6_848
; %bb.634:                              ;   in Loop: Header=BB6_53 Depth=1
	v_ashrrev_i32_e32 v11, 31, v147
	s_mov_b32 s26, exec_lo
	s_delay_alu instid0(VALU_DEP_1) | instskip(NEXT) | instid1(VALU_DEP_1)
	v_lshrrev_b32_e32 v11, 22, v11
	v_add_nc_u32_e32 v11, v147, v11
	s_delay_alu instid0(VALU_DEP_1) | instskip(NEXT) | instid1(VALU_DEP_1)
	v_ashrrev_i32_e32 v19, 10, v11
	v_sub_nc_u32_e32 v18, v19, v10
	s_delay_alu instid0(VALU_DEP_1)
	v_cmpx_lt_i32_e32 0, v18
	s_cbranch_execz .LBB6_831
; %bb.635:                              ;   in Loop: Header=BB6_53 Depth=1
	s_cbranch_execnz .LBB6_2258
; %bb.636:                              ;   in Loop: Header=BB6_53 Depth=1
	v_ashrrev_i32_e32 v11, 31, v17
	ds_load_b64 v[20:21], v0
	v_lshlrev_b32_e32 v10, 10, v10
	s_bitcmp1_b32 s25, 0
	s_mov_b32 s28, 0
	v_lshrrev_b32_e32 v11, 27, v11
	s_cselect_b32 s27, -1, 0
	s_delay_alu instid0(VALU_DEP_1) | instskip(NEXT) | instid1(VALU_DEP_1)
	v_add_nc_u32_e32 v11, v17, v11
	v_and_b32_e32 v11, 0x7fffffe0, v11
	s_delay_alu instid0(VALU_DEP_1)
	v_sub_nc_u32_e32 v15, v17, v11
	ds_load_b128 v[11:14], v0
	s_waitcnt lgkmcnt(1)
	v_add_co_u32 v20, vcc_lo, 0x3c0, v20
	v_add_co_ci_u32_e32 v21, vcc_lo, 0, v21, vcc_lo
	v_lshlrev_b32_e32 v15, 1, v15
	s_delay_alu instid0(VALU_DEP_1) | instskip(NEXT) | instid1(VALU_DEP_1)
	v_add3_u32 v15, v15, v16, v10
	v_ashrrev_i32_e32 v22, 31, v15
	s_waitcnt lgkmcnt(0)
	v_add_co_u32 v10, vcc_lo, v11, v15
	s_delay_alu instid0(VALU_DEP_2)
	v_add_co_ci_u32_e32 v11, vcc_lo, v12, v22, vcc_lo
	v_add_co_u32 v12, vcc_lo, v13, v15
	v_add_co_ci_u32_e32 v13, vcc_lo, v14, v22, vcc_lo
	v_add_co_u32 v14, vcc_lo, v20, v15
	v_add_co_ci_u32_e32 v15, vcc_lo, v21, v22, vcc_lo
	s_branch .LBB6_640
.LBB6_637:                              ;   in Loop: Header=BB6_640 Depth=2
	s_or_b32 exec_lo, exec_lo, s29
	s_delay_alu instid0(VALU_DEP_1)
	v_mov_b32_e32 v21, v20
.LBB6_638:                              ;   in Loop: Header=BB6_640 Depth=2
	s_or_b32 exec_lo, exec_lo, s13
	s_delay_alu instid0(VALU_DEP_1)
	v_mov_b32_e32 v23, v21
.LBB6_639:                              ;   in Loop: Header=BB6_640 Depth=2
	v_add_co_u32 v20, vcc_lo, 0xfffffc40, v14
	v_add_co_ci_u32_e32 v21, vcc_lo, -1, v15, vcc_lo
	v_add_co_u32 v99, vcc_lo, 0xfffffc80, v14
	v_add_co_ci_u32_e32 v100, vcc_lo, -1, v15, vcc_lo
	;; [unrolled: 2-line block ×5, first 2 shown]
	flat_store_b16 v[20:21], v22 glc slc dlc
	flat_store_b16 v[99:100], v25 glc slc dlc
	flat_store_b16 v[148:149], v28 glc slc dlc
	flat_store_b16 v[150:151], v33 glc slc dlc
	flat_store_b16 v[160:161], v36 glc slc dlc
	v_add_co_u32 v20, vcc_lo, 0xfffffd80, v14
	v_add_co_ci_u32_e32 v21, vcc_lo, -1, v15, vcc_lo
	v_add_co_u32 v24, vcc_lo, 0xfffffdc0, v14
	v_add_co_ci_u32_e32 v25, vcc_lo, -1, v15, vcc_lo
	;; [unrolled: 2-line block ×5, first 2 shown]
	flat_store_b16 v[20:21], v38 glc slc dlc
	flat_store_b16 v[24:25], v49 glc slc dlc
	;; [unrolled: 1-line block ×5, first 2 shown]
	v_add_co_u32 v20, vcc_lo, 0xfffffec0, v14
	v_add_co_ci_u32_e32 v21, vcc_lo, -1, v15, vcc_lo
	v_add_co_u32 v24, vcc_lo, 0xffffff00, v14
	v_add_co_ci_u32_e32 v25, vcc_lo, -1, v15, vcc_lo
	v_add_co_u32 v27, vcc_lo, 0xffffff40, v14
	v_add_co_ci_u32_e32 v28, vcc_lo, -1, v15, vcc_lo
	v_add_co_u32 v32, vcc_lo, 0xffffff80, v14
	v_add_co_ci_u32_e32 v33, vcc_lo, -1, v15, vcc_lo
	v_add_co_u32 v35, vcc_lo, 0xffffffc0, v14
	v_add_co_ci_u32_e32 v36, vcc_lo, -1, v15, vcc_lo
	v_add_co_u32 v10, vcc_lo, v10, v133
	v_sub_nc_u32_e32 v18, v18, v114
	v_add_co_ci_u32_e32 v11, vcc_lo, v11, v134, vcc_lo
	v_add_co_u32 v12, vcc_lo, v12, v133
	v_add_co_ci_u32_e32 v13, vcc_lo, v13, v134, vcc_lo
	flat_store_b16 v[20:21], v48 glc slc dlc
	flat_store_b16 v[24:25], v37 glc slc dlc
	;; [unrolled: 1-line block ×6, first 2 shown]
	v_cmp_gt_i32_e32 vcc_lo, 1, v18
	v_add_co_u32 v14, s11, v14, v133
	s_delay_alu instid0(VALU_DEP_1) | instskip(SKIP_1) | instid1(SALU_CYCLE_1)
	v_add_co_ci_u32_e64 v15, s11, v15, v134, s11
	s_or_b32 s28, vcc_lo, s28
	s_and_not1_b32 exec_lo, exec_lo, s28
	s_cbranch_execz .LBB6_830
.LBB6_640:                              ;   Parent Loop BB6_53 Depth=1
                                        ; =>  This Inner Loop Header: Depth=2
	s_clause 0x7
	flat_load_u16 v25, v[10:11] slc dlc
	flat_load_u16 v28, v[10:11] offset:64 slc dlc
	flat_load_u16 v33, v[10:11] offset:128 slc dlc
	;; [unrolled: 1-line block ×7, first 2 shown]
	flat_load_u16 v160, v[12:13] slc dlc
	s_clause 0x7
	flat_load_u16 v51, v[10:11] offset:512 slc dlc
	flat_load_u16 v48, v[10:11] offset:576 slc dlc
	;; [unrolled: 1-line block ×8, first 2 shown]
	s_clause 0xe
	flat_load_u16 v151, v[12:13] offset:64 slc dlc
	flat_load_u16 v150, v[12:13] offset:128 slc dlc
	;; [unrolled: 1-line block ×15, first 2 shown]
	s_mov_b32 s13, -1
	s_and_b32 vcc_lo, exec_lo, s27
	s_waitcnt vmcnt(31) lgkmcnt(31)
	v_and_b32_e32 v22, 0x7fff, v25
	s_delay_alu instid0(VALU_DEP_1) | instskip(SKIP_2) | instid1(VALU_DEP_1)
	v_cmp_lt_u16_e64 s11, 0x7c00, v22
                                        ; implicit-def: $vgpr22
	s_waitcnt vmcnt(23) lgkmcnt(23)
	v_and_b32_e32 v161, 0x7fff, v160
	v_cmp_gt_u16_e64 s12, 0x7c01, v161
	s_delay_alu instid0(VALU_DEP_1) | instskip(NEXT) | instid1(SALU_CYCLE_1)
	s_and_b32 s29, s11, s12
	s_xor_b32 s29, s29, -1
	s_cbranch_vccz .LBB6_646
; %bb.641:                              ;   in Loop: Header=BB6_640 Depth=2
	v_mov_b32_e32 v22, v160
	s_and_saveexec_b32 vcc_hi, s29
	s_cbranch_execz .LBB6_645
; %bb.642:                              ;   in Loop: Header=BB6_640 Depth=2
	v_mov_b32_e32 v22, v25
	s_or_b32 s13, s11, s12
	s_delay_alu instid0(SALU_CYCLE_1)
	s_and_saveexec_b32 s30, s13
; %bb.643:                              ;   in Loop: Header=BB6_640 Depth=2
	v_cmp_gt_f16_e64 s13, v25, v160
	v_cmp_lt_u16_e64 vcc_lo, 0x7c00, v161
	s_delay_alu instid0(VALU_DEP_2) | instskip(NEXT) | instid1(VALU_DEP_2)
	v_cndmask_b32_e64 v22, v160, v25, s13
	s_and_b32 s13, s11, vcc_lo
	s_delay_alu instid0(VALU_DEP_1) | instid1(SALU_CYCLE_1)
	v_cndmask_b32_e64 v22, v22, 0x7fff, s13
; %bb.644:                              ;   in Loop: Header=BB6_640 Depth=2
	s_or_b32 exec_lo, exec_lo, s30
.LBB6_645:                              ;   in Loop: Header=BB6_640 Depth=2
	s_delay_alu instid0(SALU_CYCLE_1)
	s_or_b32 exec_lo, exec_lo, vcc_hi
	s_mov_b32 s13, 0
.LBB6_646:                              ;   in Loop: Header=BB6_640 Depth=2
	s_delay_alu instid0(SALU_CYCLE_1)
	s_and_not1_b32 vcc_lo, exec_lo, s13
	s_cbranch_vccnz .LBB6_652
; %bb.647:                              ;   in Loop: Header=BB6_640 Depth=2
	s_and_saveexec_b32 s13, s29
	s_cbranch_execz .LBB6_651
; %bb.648:                              ;   in Loop: Header=BB6_640 Depth=2
	s_or_b32 s12, s11, s12
	s_delay_alu instid0(SALU_CYCLE_1)
	s_and_saveexec_b32 s29, s12
; %bb.649:                              ;   in Loop: Header=BB6_640 Depth=2
	v_cmp_gt_f16_e64 s12, v25, v160
	v_cmp_lt_u16_e64 vcc_lo, 0x7c00, v161
	s_delay_alu instid0(VALU_DEP_2) | instskip(NEXT) | instid1(VALU_DEP_2)
	v_cndmask_b32_e64 v22, v25, v160, s12
	s_and_b32 s11, s11, vcc_lo
	s_delay_alu instid0(VALU_DEP_1) | instid1(SALU_CYCLE_1)
	v_cndmask_b32_e64 v25, v22, 0x7fff, s11
; %bb.650:                              ;   in Loop: Header=BB6_640 Depth=2
	s_or_b32 exec_lo, exec_lo, s29
	s_delay_alu instid0(VALU_DEP_1)
	v_mov_b32_e32 v160, v25
.LBB6_651:                              ;   in Loop: Header=BB6_640 Depth=2
	s_or_b32 exec_lo, exec_lo, s13
	s_delay_alu instid0(VALU_DEP_1)
	v_mov_b32_e32 v22, v160
.LBB6_652:                              ;   in Loop: Header=BB6_640 Depth=2
	v_and_b32_e32 v25, 0x7fff, v28
	s_waitcnt vmcnt(14) lgkmcnt(14)
	v_and_b32_e32 v160, 0x7fff, v151
	s_mov_b32 s13, -1
	s_and_not1_b32 vcc_lo, exec_lo, s27
	v_cmp_lt_u16_e64 s11, 0x7c00, v25
	s_delay_alu instid0(VALU_DEP_2) | instskip(NEXT) | instid1(VALU_DEP_1)
	v_cmp_gt_u16_e64 s12, 0x7c01, v160
                                        ; implicit-def: $vgpr25
	s_and_b32 s29, s11, s12
	s_delay_alu instid0(SALU_CYCLE_1)
	s_xor_b32 s29, s29, -1
	s_cbranch_vccnz .LBB6_658
; %bb.653:                              ;   in Loop: Header=BB6_640 Depth=2
	v_mov_b32_e32 v25, v151
	s_and_saveexec_b32 vcc_hi, s29
	s_cbranch_execz .LBB6_657
; %bb.654:                              ;   in Loop: Header=BB6_640 Depth=2
	v_mov_b32_e32 v25, v28
	s_or_b32 s13, s11, s12
	s_delay_alu instid0(SALU_CYCLE_1)
	s_and_saveexec_b32 s30, s13
; %bb.655:                              ;   in Loop: Header=BB6_640 Depth=2
	v_cmp_gt_f16_e64 s13, v28, v151
	v_cmp_lt_u16_e64 vcc_lo, 0x7c00, v160
	s_delay_alu instid0(VALU_DEP_2) | instskip(NEXT) | instid1(VALU_DEP_2)
	v_cndmask_b32_e64 v25, v151, v28, s13
	s_and_b32 s13, s11, vcc_lo
	s_delay_alu instid0(VALU_DEP_1) | instid1(SALU_CYCLE_1)
	v_cndmask_b32_e64 v25, v25, 0x7fff, s13
; %bb.656:                              ;   in Loop: Header=BB6_640 Depth=2
	s_or_b32 exec_lo, exec_lo, s30
.LBB6_657:                              ;   in Loop: Header=BB6_640 Depth=2
	s_delay_alu instid0(SALU_CYCLE_1)
	s_or_b32 exec_lo, exec_lo, vcc_hi
	s_mov_b32 s13, 0
.LBB6_658:                              ;   in Loop: Header=BB6_640 Depth=2
	s_delay_alu instid0(SALU_CYCLE_1)
	s_and_not1_b32 vcc_lo, exec_lo, s13
	s_cbranch_vccnz .LBB6_664
; %bb.659:                              ;   in Loop: Header=BB6_640 Depth=2
	s_and_saveexec_b32 s13, s29
	s_cbranch_execz .LBB6_663
; %bb.660:                              ;   in Loop: Header=BB6_640 Depth=2
	s_or_b32 s12, s11, s12
	s_delay_alu instid0(SALU_CYCLE_1)
	s_and_saveexec_b32 s29, s12
; %bb.661:                              ;   in Loop: Header=BB6_640 Depth=2
	v_cmp_gt_f16_e64 s12, v28, v151
	v_cmp_lt_u16_e64 vcc_lo, 0x7c00, v160
	s_delay_alu instid0(VALU_DEP_2) | instskip(NEXT) | instid1(VALU_DEP_2)
	v_cndmask_b32_e64 v25, v28, v151, s12
	s_and_b32 s11, s11, vcc_lo
	s_delay_alu instid0(VALU_DEP_1) | instid1(SALU_CYCLE_1)
	v_cndmask_b32_e64 v28, v25, 0x7fff, s11
; %bb.662:                              ;   in Loop: Header=BB6_640 Depth=2
	s_or_b32 exec_lo, exec_lo, s29
	s_delay_alu instid0(VALU_DEP_1)
	v_mov_b32_e32 v151, v28
.LBB6_663:                              ;   in Loop: Header=BB6_640 Depth=2
	s_or_b32 exec_lo, exec_lo, s13
	s_delay_alu instid0(VALU_DEP_1)
	v_mov_b32_e32 v25, v151
.LBB6_664:                              ;   in Loop: Header=BB6_640 Depth=2
	v_and_b32_e32 v28, 0x7fff, v33
	s_waitcnt vmcnt(13) lgkmcnt(13)
	v_and_b32_e32 v151, 0x7fff, v150
	s_mov_b32 s13, -1
	s_and_not1_b32 vcc_lo, exec_lo, s27
	v_cmp_lt_u16_e64 s11, 0x7c00, v28
	s_delay_alu instid0(VALU_DEP_2) | instskip(NEXT) | instid1(VALU_DEP_1)
	v_cmp_gt_u16_e64 s12, 0x7c01, v151
                                        ; implicit-def: $vgpr28
	s_and_b32 s29, s11, s12
	s_delay_alu instid0(SALU_CYCLE_1)
	s_xor_b32 s29, s29, -1
	s_cbranch_vccnz .LBB6_670
; %bb.665:                              ;   in Loop: Header=BB6_640 Depth=2
	v_mov_b32_e32 v28, v150
	s_and_saveexec_b32 vcc_hi, s29
	s_cbranch_execz .LBB6_669
; %bb.666:                              ;   in Loop: Header=BB6_640 Depth=2
	v_mov_b32_e32 v28, v33
	s_or_b32 s13, s11, s12
	s_delay_alu instid0(SALU_CYCLE_1)
	s_and_saveexec_b32 s30, s13
; %bb.667:                              ;   in Loop: Header=BB6_640 Depth=2
	v_cmp_gt_f16_e64 s13, v33, v150
	v_cmp_lt_u16_e64 vcc_lo, 0x7c00, v151
	s_delay_alu instid0(VALU_DEP_2) | instskip(NEXT) | instid1(VALU_DEP_2)
	v_cndmask_b32_e64 v28, v150, v33, s13
	s_and_b32 s13, s11, vcc_lo
	s_delay_alu instid0(VALU_DEP_1) | instid1(SALU_CYCLE_1)
	v_cndmask_b32_e64 v28, v28, 0x7fff, s13
; %bb.668:                              ;   in Loop: Header=BB6_640 Depth=2
	s_or_b32 exec_lo, exec_lo, s30
.LBB6_669:                              ;   in Loop: Header=BB6_640 Depth=2
	s_delay_alu instid0(SALU_CYCLE_1)
	s_or_b32 exec_lo, exec_lo, vcc_hi
	s_mov_b32 s13, 0
.LBB6_670:                              ;   in Loop: Header=BB6_640 Depth=2
	s_delay_alu instid0(SALU_CYCLE_1)
	s_and_not1_b32 vcc_lo, exec_lo, s13
	s_cbranch_vccnz .LBB6_676
; %bb.671:                              ;   in Loop: Header=BB6_640 Depth=2
	s_and_saveexec_b32 s13, s29
	s_cbranch_execz .LBB6_675
; %bb.672:                              ;   in Loop: Header=BB6_640 Depth=2
	s_or_b32 s12, s11, s12
	s_delay_alu instid0(SALU_CYCLE_1)
	s_and_saveexec_b32 s29, s12
; %bb.673:                              ;   in Loop: Header=BB6_640 Depth=2
	v_cmp_gt_f16_e64 s12, v33, v150
	v_cmp_lt_u16_e64 vcc_lo, 0x7c00, v151
	s_delay_alu instid0(VALU_DEP_2) | instskip(NEXT) | instid1(VALU_DEP_2)
	v_cndmask_b32_e64 v28, v33, v150, s12
	s_and_b32 s11, s11, vcc_lo
	s_delay_alu instid0(VALU_DEP_1) | instid1(SALU_CYCLE_1)
	v_cndmask_b32_e64 v33, v28, 0x7fff, s11
; %bb.674:                              ;   in Loop: Header=BB6_640 Depth=2
	s_or_b32 exec_lo, exec_lo, s29
	s_delay_alu instid0(VALU_DEP_1)
	v_mov_b32_e32 v150, v33
.LBB6_675:                              ;   in Loop: Header=BB6_640 Depth=2
	s_or_b32 exec_lo, exec_lo, s13
	s_delay_alu instid0(VALU_DEP_1)
	v_mov_b32_e32 v28, v150
.LBB6_676:                              ;   in Loop: Header=BB6_640 Depth=2
	v_and_b32_e32 v33, 0x7fff, v36
	s_waitcnt vmcnt(12) lgkmcnt(12)
	v_and_b32_e32 v150, 0x7fff, v149
	s_mov_b32 s13, -1
	s_and_not1_b32 vcc_lo, exec_lo, s27
	v_cmp_lt_u16_e64 s11, 0x7c00, v33
	s_delay_alu instid0(VALU_DEP_2) | instskip(NEXT) | instid1(VALU_DEP_1)
	v_cmp_gt_u16_e64 s12, 0x7c01, v150
                                        ; implicit-def: $vgpr33
	s_and_b32 s29, s11, s12
	s_delay_alu instid0(SALU_CYCLE_1)
	s_xor_b32 s29, s29, -1
	s_cbranch_vccnz .LBB6_682
; %bb.677:                              ;   in Loop: Header=BB6_640 Depth=2
	v_mov_b32_e32 v33, v149
	s_and_saveexec_b32 vcc_hi, s29
	s_cbranch_execz .LBB6_681
; %bb.678:                              ;   in Loop: Header=BB6_640 Depth=2
	v_mov_b32_e32 v33, v36
	s_or_b32 s13, s11, s12
	s_delay_alu instid0(SALU_CYCLE_1)
	s_and_saveexec_b32 s30, s13
; %bb.679:                              ;   in Loop: Header=BB6_640 Depth=2
	v_cmp_gt_f16_e64 s13, v36, v149
	v_cmp_lt_u16_e64 vcc_lo, 0x7c00, v150
	s_delay_alu instid0(VALU_DEP_2) | instskip(NEXT) | instid1(VALU_DEP_2)
	v_cndmask_b32_e64 v33, v149, v36, s13
	s_and_b32 s13, s11, vcc_lo
	s_delay_alu instid0(VALU_DEP_1) | instid1(SALU_CYCLE_1)
	v_cndmask_b32_e64 v33, v33, 0x7fff, s13
; %bb.680:                              ;   in Loop: Header=BB6_640 Depth=2
	s_or_b32 exec_lo, exec_lo, s30
.LBB6_681:                              ;   in Loop: Header=BB6_640 Depth=2
	s_delay_alu instid0(SALU_CYCLE_1)
	s_or_b32 exec_lo, exec_lo, vcc_hi
	s_mov_b32 s13, 0
.LBB6_682:                              ;   in Loop: Header=BB6_640 Depth=2
	s_delay_alu instid0(SALU_CYCLE_1)
	s_and_not1_b32 vcc_lo, exec_lo, s13
	s_cbranch_vccnz .LBB6_688
; %bb.683:                              ;   in Loop: Header=BB6_640 Depth=2
	s_and_saveexec_b32 s13, s29
	s_cbranch_execz .LBB6_687
; %bb.684:                              ;   in Loop: Header=BB6_640 Depth=2
	s_or_b32 s12, s11, s12
	s_delay_alu instid0(SALU_CYCLE_1)
	s_and_saveexec_b32 s29, s12
; %bb.685:                              ;   in Loop: Header=BB6_640 Depth=2
	v_cmp_gt_f16_e64 s12, v36, v149
	v_cmp_lt_u16_e64 vcc_lo, 0x7c00, v150
	s_delay_alu instid0(VALU_DEP_2) | instskip(NEXT) | instid1(VALU_DEP_2)
	v_cndmask_b32_e64 v33, v36, v149, s12
	s_and_b32 s11, s11, vcc_lo
	s_delay_alu instid0(VALU_DEP_1) | instid1(SALU_CYCLE_1)
	v_cndmask_b32_e64 v36, v33, 0x7fff, s11
; %bb.686:                              ;   in Loop: Header=BB6_640 Depth=2
	s_or_b32 exec_lo, exec_lo, s29
	s_delay_alu instid0(VALU_DEP_1)
	v_mov_b32_e32 v149, v36
.LBB6_687:                              ;   in Loop: Header=BB6_640 Depth=2
	s_or_b32 exec_lo, exec_lo, s13
	s_delay_alu instid0(VALU_DEP_1)
	v_mov_b32_e32 v33, v149
.LBB6_688:                              ;   in Loop: Header=BB6_640 Depth=2
	v_and_b32_e32 v36, 0x7fff, v38
	s_waitcnt vmcnt(11) lgkmcnt(11)
	v_and_b32_e32 v149, 0x7fff, v148
	s_mov_b32 s13, -1
	s_and_not1_b32 vcc_lo, exec_lo, s27
	v_cmp_lt_u16_e64 s11, 0x7c00, v36
	s_delay_alu instid0(VALU_DEP_2) | instskip(NEXT) | instid1(VALU_DEP_1)
	v_cmp_gt_u16_e64 s12, 0x7c01, v149
                                        ; implicit-def: $vgpr36
	s_and_b32 s29, s11, s12
	s_delay_alu instid0(SALU_CYCLE_1)
	s_xor_b32 s29, s29, -1
	s_cbranch_vccnz .LBB6_694
; %bb.689:                              ;   in Loop: Header=BB6_640 Depth=2
	v_mov_b32_e32 v36, v148
	s_and_saveexec_b32 vcc_hi, s29
	s_cbranch_execz .LBB6_693
; %bb.690:                              ;   in Loop: Header=BB6_640 Depth=2
	v_mov_b32_e32 v36, v38
	s_or_b32 s13, s11, s12
	s_delay_alu instid0(SALU_CYCLE_1)
	s_and_saveexec_b32 s30, s13
; %bb.691:                              ;   in Loop: Header=BB6_640 Depth=2
	v_cmp_gt_f16_e64 s13, v38, v148
	v_cmp_lt_u16_e64 vcc_lo, 0x7c00, v149
	s_delay_alu instid0(VALU_DEP_2) | instskip(NEXT) | instid1(VALU_DEP_2)
	v_cndmask_b32_e64 v36, v148, v38, s13
	s_and_b32 s13, s11, vcc_lo
	s_delay_alu instid0(VALU_DEP_1) | instid1(SALU_CYCLE_1)
	v_cndmask_b32_e64 v36, v36, 0x7fff, s13
; %bb.692:                              ;   in Loop: Header=BB6_640 Depth=2
	s_or_b32 exec_lo, exec_lo, s30
.LBB6_693:                              ;   in Loop: Header=BB6_640 Depth=2
	s_delay_alu instid0(SALU_CYCLE_1)
	s_or_b32 exec_lo, exec_lo, vcc_hi
	s_mov_b32 s13, 0
.LBB6_694:                              ;   in Loop: Header=BB6_640 Depth=2
	s_delay_alu instid0(SALU_CYCLE_1)
	s_and_not1_b32 vcc_lo, exec_lo, s13
	s_cbranch_vccnz .LBB6_700
; %bb.695:                              ;   in Loop: Header=BB6_640 Depth=2
	s_and_saveexec_b32 s13, s29
	s_cbranch_execz .LBB6_699
; %bb.696:                              ;   in Loop: Header=BB6_640 Depth=2
	s_or_b32 s12, s11, s12
	s_delay_alu instid0(SALU_CYCLE_1)
	s_and_saveexec_b32 s29, s12
; %bb.697:                              ;   in Loop: Header=BB6_640 Depth=2
	v_cmp_gt_f16_e64 s12, v38, v148
	v_cmp_lt_u16_e64 vcc_lo, 0x7c00, v149
	s_delay_alu instid0(VALU_DEP_2) | instskip(NEXT) | instid1(VALU_DEP_2)
	v_cndmask_b32_e64 v36, v38, v148, s12
	s_and_b32 s11, s11, vcc_lo
	s_delay_alu instid0(VALU_DEP_1) | instid1(SALU_CYCLE_1)
	v_cndmask_b32_e64 v38, v36, 0x7fff, s11
; %bb.698:                              ;   in Loop: Header=BB6_640 Depth=2
	s_or_b32 exec_lo, exec_lo, s29
	s_delay_alu instid0(VALU_DEP_1)
	v_mov_b32_e32 v148, v38
.LBB6_699:                              ;   in Loop: Header=BB6_640 Depth=2
	s_or_b32 exec_lo, exec_lo, s13
	s_delay_alu instid0(VALU_DEP_1)
	v_mov_b32_e32 v36, v148
.LBB6_700:                              ;   in Loop: Header=BB6_640 Depth=2
	v_and_b32_e32 v38, 0x7fff, v49
	s_waitcnt vmcnt(10) lgkmcnt(10)
	v_and_b32_e32 v148, 0x7fff, v101
	s_mov_b32 s13, -1
	s_and_not1_b32 vcc_lo, exec_lo, s27
	v_cmp_lt_u16_e64 s11, 0x7c00, v38
	s_delay_alu instid0(VALU_DEP_2) | instskip(NEXT) | instid1(VALU_DEP_1)
	v_cmp_gt_u16_e64 s12, 0x7c01, v148
                                        ; implicit-def: $vgpr38
	s_and_b32 s29, s11, s12
	s_delay_alu instid0(SALU_CYCLE_1)
	s_xor_b32 s29, s29, -1
	s_cbranch_vccnz .LBB6_706
; %bb.701:                              ;   in Loop: Header=BB6_640 Depth=2
	v_mov_b32_e32 v38, v101
	s_and_saveexec_b32 vcc_hi, s29
	s_cbranch_execz .LBB6_705
; %bb.702:                              ;   in Loop: Header=BB6_640 Depth=2
	v_mov_b32_e32 v38, v49
	s_or_b32 s13, s11, s12
	s_delay_alu instid0(SALU_CYCLE_1)
	s_and_saveexec_b32 s30, s13
; %bb.703:                              ;   in Loop: Header=BB6_640 Depth=2
	v_cmp_gt_f16_e64 s13, v49, v101
	v_cmp_lt_u16_e64 vcc_lo, 0x7c00, v148
	s_delay_alu instid0(VALU_DEP_2) | instskip(NEXT) | instid1(VALU_DEP_2)
	v_cndmask_b32_e64 v38, v101, v49, s13
	s_and_b32 s13, s11, vcc_lo
	s_delay_alu instid0(VALU_DEP_1) | instid1(SALU_CYCLE_1)
	v_cndmask_b32_e64 v38, v38, 0x7fff, s13
; %bb.704:                              ;   in Loop: Header=BB6_640 Depth=2
	s_or_b32 exec_lo, exec_lo, s30
.LBB6_705:                              ;   in Loop: Header=BB6_640 Depth=2
	s_delay_alu instid0(SALU_CYCLE_1)
	s_or_b32 exec_lo, exec_lo, vcc_hi
	s_mov_b32 s13, 0
.LBB6_706:                              ;   in Loop: Header=BB6_640 Depth=2
	s_delay_alu instid0(SALU_CYCLE_1)
	s_and_not1_b32 vcc_lo, exec_lo, s13
	s_cbranch_vccnz .LBB6_712
; %bb.707:                              ;   in Loop: Header=BB6_640 Depth=2
	s_and_saveexec_b32 s13, s29
	s_cbranch_execz .LBB6_711
; %bb.708:                              ;   in Loop: Header=BB6_640 Depth=2
	s_or_b32 s12, s11, s12
	s_delay_alu instid0(SALU_CYCLE_1)
	s_and_saveexec_b32 s29, s12
; %bb.709:                              ;   in Loop: Header=BB6_640 Depth=2
	v_cmp_gt_f16_e64 s12, v49, v101
	v_cmp_lt_u16_e64 vcc_lo, 0x7c00, v148
	s_delay_alu instid0(VALU_DEP_2) | instskip(NEXT) | instid1(VALU_DEP_2)
	v_cndmask_b32_e64 v38, v49, v101, s12
	s_and_b32 s11, s11, vcc_lo
	s_delay_alu instid0(VALU_DEP_1) | instid1(SALU_CYCLE_1)
	v_cndmask_b32_e64 v49, v38, 0x7fff, s11
; %bb.710:                              ;   in Loop: Header=BB6_640 Depth=2
	s_or_b32 exec_lo, exec_lo, s29
	s_delay_alu instid0(VALU_DEP_1)
	v_mov_b32_e32 v101, v49
.LBB6_711:                              ;   in Loop: Header=BB6_640 Depth=2
	s_or_b32 exec_lo, exec_lo, s13
	s_delay_alu instid0(VALU_DEP_1)
	v_mov_b32_e32 v38, v101
.LBB6_712:                              ;   in Loop: Header=BB6_640 Depth=2
	v_and_b32_e32 v49, 0x7fff, v96
	s_waitcnt vmcnt(9) lgkmcnt(9)
	v_and_b32_e32 v101, 0x7fff, v100
	s_mov_b32 s13, -1
	s_and_not1_b32 vcc_lo, exec_lo, s27
	v_cmp_lt_u16_e64 s11, 0x7c00, v49
	s_delay_alu instid0(VALU_DEP_2) | instskip(NEXT) | instid1(VALU_DEP_1)
	v_cmp_gt_u16_e64 s12, 0x7c01, v101
                                        ; implicit-def: $vgpr49
	s_and_b32 s29, s11, s12
	s_delay_alu instid0(SALU_CYCLE_1)
	s_xor_b32 s29, s29, -1
	s_cbranch_vccnz .LBB6_718
; %bb.713:                              ;   in Loop: Header=BB6_640 Depth=2
	v_mov_b32_e32 v49, v100
	s_and_saveexec_b32 vcc_hi, s29
	s_cbranch_execz .LBB6_717
; %bb.714:                              ;   in Loop: Header=BB6_640 Depth=2
	v_mov_b32_e32 v49, v96
	s_or_b32 s13, s11, s12
	s_delay_alu instid0(SALU_CYCLE_1)
	s_and_saveexec_b32 s30, s13
; %bb.715:                              ;   in Loop: Header=BB6_640 Depth=2
	v_cmp_gt_f16_e64 s13, v96, v100
	v_cmp_lt_u16_e32 vcc_lo, 0x7c00, v101
	s_delay_alu instid0(VALU_DEP_2)
	v_cndmask_b32_e64 v49, v100, v96, s13
	s_and_b32 s13, s11, vcc_lo
	s_delay_alu instid0(VALU_DEP_1) | instid1(SALU_CYCLE_1)
	v_cndmask_b32_e64 v49, v49, 0x7fff, s13
; %bb.716:                              ;   in Loop: Header=BB6_640 Depth=2
	s_or_b32 exec_lo, exec_lo, s30
.LBB6_717:                              ;   in Loop: Header=BB6_640 Depth=2
	s_delay_alu instid0(SALU_CYCLE_1)
	s_or_b32 exec_lo, exec_lo, vcc_hi
	s_mov_b32 s13, 0
.LBB6_718:                              ;   in Loop: Header=BB6_640 Depth=2
	s_delay_alu instid0(SALU_CYCLE_1)
	s_and_not1_b32 vcc_lo, exec_lo, s13
	s_cbranch_vccnz .LBB6_724
; %bb.719:                              ;   in Loop: Header=BB6_640 Depth=2
	s_and_saveexec_b32 s13, s29
	s_cbranch_execz .LBB6_723
; %bb.720:                              ;   in Loop: Header=BB6_640 Depth=2
	s_or_b32 s12, s11, s12
	s_delay_alu instid0(SALU_CYCLE_1)
	s_and_saveexec_b32 s29, s12
; %bb.721:                              ;   in Loop: Header=BB6_640 Depth=2
	v_cmp_gt_f16_e64 s12, v96, v100
	v_cmp_lt_u16_e32 vcc_lo, 0x7c00, v101
	s_delay_alu instid0(VALU_DEP_2)
	v_cndmask_b32_e64 v49, v96, v100, s12
	s_and_b32 s11, s11, vcc_lo
	s_delay_alu instid0(VALU_DEP_1) | instid1(SALU_CYCLE_1)
	v_cndmask_b32_e64 v96, v49, 0x7fff, s11
; %bb.722:                              ;   in Loop: Header=BB6_640 Depth=2
	s_or_b32 exec_lo, exec_lo, s29
	s_delay_alu instid0(VALU_DEP_1)
	v_mov_b32_e32 v100, v96
.LBB6_723:                              ;   in Loop: Header=BB6_640 Depth=2
	s_or_b32 exec_lo, exec_lo, s13
	s_delay_alu instid0(VALU_DEP_1)
	v_mov_b32_e32 v49, v100
.LBB6_724:                              ;   in Loop: Header=BB6_640 Depth=2
	v_and_b32_e32 v96, 0x7fff, v98
	s_waitcnt vmcnt(8) lgkmcnt(8)
	v_and_b32_e32 v100, 0x7fff, v99
	s_mov_b32 s13, -1
	s_and_not1_b32 vcc_lo, exec_lo, s27
	v_cmp_lt_u16_e64 s11, 0x7c00, v96
	s_delay_alu instid0(VALU_DEP_2) | instskip(NEXT) | instid1(VALU_DEP_1)
	v_cmp_gt_u16_e64 s12, 0x7c01, v100
                                        ; implicit-def: $vgpr96
	s_and_b32 s29, s11, s12
	s_delay_alu instid0(SALU_CYCLE_1)
	s_xor_b32 s29, s29, -1
	s_cbranch_vccnz .LBB6_730
; %bb.725:                              ;   in Loop: Header=BB6_640 Depth=2
	v_mov_b32_e32 v96, v99
	s_and_saveexec_b32 vcc_hi, s29
	s_cbranch_execz .LBB6_729
; %bb.726:                              ;   in Loop: Header=BB6_640 Depth=2
	v_mov_b32_e32 v96, v98
	s_or_b32 s13, s11, s12
	s_delay_alu instid0(SALU_CYCLE_1)
	s_and_saveexec_b32 s30, s13
; %bb.727:                              ;   in Loop: Header=BB6_640 Depth=2
	v_cmp_gt_f16_e64 s13, v98, v99
	v_cmp_lt_u16_e32 vcc_lo, 0x7c00, v100
	s_delay_alu instid0(VALU_DEP_2)
	v_cndmask_b32_e64 v96, v99, v98, s13
	s_and_b32 s13, s11, vcc_lo
	s_delay_alu instid0(VALU_DEP_1) | instid1(SALU_CYCLE_1)
	v_cndmask_b32_e64 v96, v96, 0x7fff, s13
; %bb.728:                              ;   in Loop: Header=BB6_640 Depth=2
	s_or_b32 exec_lo, exec_lo, s30
.LBB6_729:                              ;   in Loop: Header=BB6_640 Depth=2
	s_delay_alu instid0(SALU_CYCLE_1)
	s_or_b32 exec_lo, exec_lo, vcc_hi
	s_mov_b32 s13, 0
.LBB6_730:                              ;   in Loop: Header=BB6_640 Depth=2
	s_delay_alu instid0(SALU_CYCLE_1)
	s_and_not1_b32 vcc_lo, exec_lo, s13
	s_cbranch_vccnz .LBB6_736
; %bb.731:                              ;   in Loop: Header=BB6_640 Depth=2
	s_and_saveexec_b32 s13, s29
	s_cbranch_execz .LBB6_735
; %bb.732:                              ;   in Loop: Header=BB6_640 Depth=2
	s_or_b32 s12, s11, s12
	s_delay_alu instid0(SALU_CYCLE_1)
	s_and_saveexec_b32 s29, s12
; %bb.733:                              ;   in Loop: Header=BB6_640 Depth=2
	v_cmp_gt_f16_e64 s12, v98, v99
	v_cmp_lt_u16_e32 vcc_lo, 0x7c00, v100
	s_delay_alu instid0(VALU_DEP_2)
	v_cndmask_b32_e64 v96, v98, v99, s12
	s_and_b32 s11, s11, vcc_lo
	s_delay_alu instid0(VALU_DEP_1) | instid1(SALU_CYCLE_1)
	v_cndmask_b32_e64 v98, v96, 0x7fff, s11
; %bb.734:                              ;   in Loop: Header=BB6_640 Depth=2
	s_or_b32 exec_lo, exec_lo, s29
	s_delay_alu instid0(VALU_DEP_1)
	v_mov_b32_e32 v99, v98
.LBB6_735:                              ;   in Loop: Header=BB6_640 Depth=2
	s_or_b32 exec_lo, exec_lo, s13
	s_delay_alu instid0(VALU_DEP_1)
	v_mov_b32_e32 v96, v99
.LBB6_736:                              ;   in Loop: Header=BB6_640 Depth=2
	v_and_b32_e32 v98, 0x7fff, v51
	s_waitcnt vmcnt(7) lgkmcnt(7)
	v_and_b32_e32 v99, 0x7fff, v97
	s_mov_b32 s13, -1
	s_and_not1_b32 vcc_lo, exec_lo, s27
	v_cmp_lt_u16_e64 s11, 0x7c00, v98
	s_delay_alu instid0(VALU_DEP_2) | instskip(NEXT) | instid1(VALU_DEP_1)
	v_cmp_gt_u16_e64 s12, 0x7c01, v99
                                        ; implicit-def: $vgpr98
	s_and_b32 s29, s11, s12
	s_delay_alu instid0(SALU_CYCLE_1)
	s_xor_b32 s29, s29, -1
	s_cbranch_vccnz .LBB6_742
; %bb.737:                              ;   in Loop: Header=BB6_640 Depth=2
	v_mov_b32_e32 v98, v97
	s_and_saveexec_b32 vcc_hi, s29
	s_cbranch_execz .LBB6_741
; %bb.738:                              ;   in Loop: Header=BB6_640 Depth=2
	v_mov_b32_e32 v98, v51
	s_or_b32 s13, s11, s12
	s_delay_alu instid0(SALU_CYCLE_1)
	s_and_saveexec_b32 s30, s13
; %bb.739:                              ;   in Loop: Header=BB6_640 Depth=2
	v_cmp_gt_f16_e64 s13, v51, v97
	v_cmp_lt_u16_e32 vcc_lo, 0x7c00, v99
	s_delay_alu instid0(VALU_DEP_2)
	v_cndmask_b32_e64 v98, v97, v51, s13
	s_and_b32 s13, s11, vcc_lo
	s_delay_alu instid0(VALU_DEP_1) | instid1(SALU_CYCLE_1)
	v_cndmask_b32_e64 v98, v98, 0x7fff, s13
; %bb.740:                              ;   in Loop: Header=BB6_640 Depth=2
	s_or_b32 exec_lo, exec_lo, s30
.LBB6_741:                              ;   in Loop: Header=BB6_640 Depth=2
	s_delay_alu instid0(SALU_CYCLE_1)
	s_or_b32 exec_lo, exec_lo, vcc_hi
	s_mov_b32 s13, 0
.LBB6_742:                              ;   in Loop: Header=BB6_640 Depth=2
	s_delay_alu instid0(SALU_CYCLE_1)
	s_and_not1_b32 vcc_lo, exec_lo, s13
	s_cbranch_vccnz .LBB6_748
; %bb.743:                              ;   in Loop: Header=BB6_640 Depth=2
	s_and_saveexec_b32 s13, s29
	s_cbranch_execz .LBB6_747
; %bb.744:                              ;   in Loop: Header=BB6_640 Depth=2
	s_or_b32 s12, s11, s12
	s_delay_alu instid0(SALU_CYCLE_1)
	s_and_saveexec_b32 s29, s12
; %bb.745:                              ;   in Loop: Header=BB6_640 Depth=2
	v_cmp_gt_f16_e64 s12, v51, v97
	v_cmp_lt_u16_e32 vcc_lo, 0x7c00, v99
	s_delay_alu instid0(VALU_DEP_2)
	v_cndmask_b32_e64 v51, v51, v97, s12
	s_and_b32 s11, s11, vcc_lo
	s_delay_alu instid0(VALU_DEP_1) | instid1(SALU_CYCLE_1)
	v_cndmask_b32_e64 v51, v51, 0x7fff, s11
; %bb.746:                              ;   in Loop: Header=BB6_640 Depth=2
	s_or_b32 exec_lo, exec_lo, s29
	s_delay_alu instid0(VALU_DEP_1)
	v_mov_b32_e32 v97, v51
.LBB6_747:                              ;   in Loop: Header=BB6_640 Depth=2
	s_or_b32 exec_lo, exec_lo, s13
	s_delay_alu instid0(VALU_DEP_1)
	v_mov_b32_e32 v98, v97
.LBB6_748:                              ;   in Loop: Header=BB6_640 Depth=2
	v_and_b32_e32 v51, 0x7fff, v48
	s_waitcnt vmcnt(6) lgkmcnt(6)
	v_and_b32_e32 v97, 0x7fff, v50
	s_mov_b32 s13, -1
	s_and_not1_b32 vcc_lo, exec_lo, s27
	v_cmp_lt_u16_e64 s11, 0x7c00, v51
	s_delay_alu instid0(VALU_DEP_2) | instskip(NEXT) | instid1(VALU_DEP_1)
	v_cmp_gt_u16_e64 s12, 0x7c01, v97
                                        ; implicit-def: $vgpr51
	s_and_b32 s29, s11, s12
	s_delay_alu instid0(SALU_CYCLE_1)
	s_xor_b32 s29, s29, -1
	s_cbranch_vccnz .LBB6_754
; %bb.749:                              ;   in Loop: Header=BB6_640 Depth=2
	v_mov_b32_e32 v51, v50
	s_and_saveexec_b32 vcc_hi, s29
	s_cbranch_execz .LBB6_753
; %bb.750:                              ;   in Loop: Header=BB6_640 Depth=2
	v_mov_b32_e32 v51, v48
	s_or_b32 s13, s11, s12
	s_delay_alu instid0(SALU_CYCLE_1)
	s_and_saveexec_b32 s30, s13
; %bb.751:                              ;   in Loop: Header=BB6_640 Depth=2
	v_cmp_gt_f16_e64 s13, v48, v50
	v_cmp_lt_u16_e32 vcc_lo, 0x7c00, v97
	s_delay_alu instid0(VALU_DEP_2)
	v_cndmask_b32_e64 v51, v50, v48, s13
	s_and_b32 s13, s11, vcc_lo
	s_delay_alu instid0(VALU_DEP_1) | instid1(SALU_CYCLE_1)
	v_cndmask_b32_e64 v51, v51, 0x7fff, s13
; %bb.752:                              ;   in Loop: Header=BB6_640 Depth=2
	s_or_b32 exec_lo, exec_lo, s30
.LBB6_753:                              ;   in Loop: Header=BB6_640 Depth=2
	s_delay_alu instid0(SALU_CYCLE_1)
	s_or_b32 exec_lo, exec_lo, vcc_hi
	s_mov_b32 s13, 0
.LBB6_754:                              ;   in Loop: Header=BB6_640 Depth=2
	s_delay_alu instid0(SALU_CYCLE_1)
	s_and_not1_b32 vcc_lo, exec_lo, s13
	s_cbranch_vccnz .LBB6_760
; %bb.755:                              ;   in Loop: Header=BB6_640 Depth=2
	s_and_saveexec_b32 s13, s29
	s_cbranch_execz .LBB6_759
; %bb.756:                              ;   in Loop: Header=BB6_640 Depth=2
	s_or_b32 s12, s11, s12
	s_delay_alu instid0(SALU_CYCLE_1)
	s_and_saveexec_b32 s29, s12
; %bb.757:                              ;   in Loop: Header=BB6_640 Depth=2
	v_cmp_gt_f16_e64 s12, v48, v50
	v_cmp_lt_u16_e32 vcc_lo, 0x7c00, v97
	s_delay_alu instid0(VALU_DEP_2)
	v_cndmask_b32_e64 v48, v48, v50, s12
	s_and_b32 s11, s11, vcc_lo
	s_delay_alu instid0(VALU_DEP_1) | instid1(SALU_CYCLE_1)
	v_cndmask_b32_e64 v48, v48, 0x7fff, s11
; %bb.758:                              ;   in Loop: Header=BB6_640 Depth=2
	s_or_b32 exec_lo, exec_lo, s29
	s_delay_alu instid0(VALU_DEP_1)
	v_mov_b32_e32 v50, v48
.LBB6_759:                              ;   in Loop: Header=BB6_640 Depth=2
	s_or_b32 exec_lo, exec_lo, s13
	s_delay_alu instid0(VALU_DEP_1)
	v_mov_b32_e32 v51, v50
.LBB6_760:                              ;   in Loop: Header=BB6_640 Depth=2
	v_and_b32_e32 v48, 0x7fff, v37
	s_waitcnt vmcnt(5) lgkmcnt(5)
	v_and_b32_e32 v50, 0x7fff, v39
	s_mov_b32 s13, -1
	s_and_not1_b32 vcc_lo, exec_lo, s27
	v_cmp_lt_u16_e64 s11, 0x7c00, v48
	s_delay_alu instid0(VALU_DEP_2) | instskip(NEXT) | instid1(VALU_DEP_1)
	v_cmp_gt_u16_e64 s12, 0x7c01, v50
                                        ; implicit-def: $vgpr48
	s_and_b32 s29, s11, s12
	s_delay_alu instid0(SALU_CYCLE_1)
	s_xor_b32 s29, s29, -1
	s_cbranch_vccnz .LBB6_766
; %bb.761:                              ;   in Loop: Header=BB6_640 Depth=2
	v_mov_b32_e32 v48, v39
	s_and_saveexec_b32 vcc_hi, s29
	s_cbranch_execz .LBB6_765
; %bb.762:                              ;   in Loop: Header=BB6_640 Depth=2
	v_mov_b32_e32 v48, v37
	s_or_b32 s13, s11, s12
	s_delay_alu instid0(SALU_CYCLE_1)
	s_and_saveexec_b32 s30, s13
; %bb.763:                              ;   in Loop: Header=BB6_640 Depth=2
	v_cmp_gt_f16_e64 s13, v37, v39
	v_cmp_lt_u16_e32 vcc_lo, 0x7c00, v50
	s_delay_alu instid0(VALU_DEP_2)
	v_cndmask_b32_e64 v48, v39, v37, s13
	s_and_b32 s13, s11, vcc_lo
	s_delay_alu instid0(VALU_DEP_1) | instid1(SALU_CYCLE_1)
	v_cndmask_b32_e64 v48, v48, 0x7fff, s13
; %bb.764:                              ;   in Loop: Header=BB6_640 Depth=2
	s_or_b32 exec_lo, exec_lo, s30
.LBB6_765:                              ;   in Loop: Header=BB6_640 Depth=2
	s_delay_alu instid0(SALU_CYCLE_1)
	s_or_b32 exec_lo, exec_lo, vcc_hi
	s_mov_b32 s13, 0
.LBB6_766:                              ;   in Loop: Header=BB6_640 Depth=2
	s_delay_alu instid0(SALU_CYCLE_1)
	s_and_not1_b32 vcc_lo, exec_lo, s13
	s_cbranch_vccnz .LBB6_772
; %bb.767:                              ;   in Loop: Header=BB6_640 Depth=2
	s_and_saveexec_b32 s13, s29
	s_cbranch_execz .LBB6_771
; %bb.768:                              ;   in Loop: Header=BB6_640 Depth=2
	s_or_b32 s12, s11, s12
	s_delay_alu instid0(SALU_CYCLE_1)
	s_and_saveexec_b32 s29, s12
; %bb.769:                              ;   in Loop: Header=BB6_640 Depth=2
	v_cmp_gt_f16_e64 s12, v37, v39
	v_cmp_lt_u16_e32 vcc_lo, 0x7c00, v50
	s_delay_alu instid0(VALU_DEP_2)
	v_cndmask_b32_e64 v37, v37, v39, s12
	s_and_b32 s11, s11, vcc_lo
	s_delay_alu instid0(VALU_DEP_1) | instid1(SALU_CYCLE_1)
	v_cndmask_b32_e64 v37, v37, 0x7fff, s11
; %bb.770:                              ;   in Loop: Header=BB6_640 Depth=2
	s_or_b32 exec_lo, exec_lo, s29
	s_delay_alu instid0(VALU_DEP_1)
	v_mov_b32_e32 v39, v37
.LBB6_771:                              ;   in Loop: Header=BB6_640 Depth=2
	s_or_b32 exec_lo, exec_lo, s13
	s_delay_alu instid0(VALU_DEP_1)
	v_mov_b32_e32 v48, v39
.LBB6_772:                              ;   in Loop: Header=BB6_640 Depth=2
	v_and_b32_e32 v37, 0x7fff, v34
	s_waitcnt vmcnt(4) lgkmcnt(4)
	v_and_b32_e32 v39, 0x7fff, v35
	s_mov_b32 s13, -1
	s_and_not1_b32 vcc_lo, exec_lo, s27
	v_cmp_lt_u16_e64 s11, 0x7c00, v37
	s_delay_alu instid0(VALU_DEP_2) | instskip(NEXT) | instid1(VALU_DEP_1)
	v_cmp_gt_u16_e64 s12, 0x7c01, v39
                                        ; implicit-def: $vgpr37
	s_and_b32 s29, s11, s12
	s_delay_alu instid0(SALU_CYCLE_1)
	s_xor_b32 s29, s29, -1
	s_cbranch_vccnz .LBB6_778
; %bb.773:                              ;   in Loop: Header=BB6_640 Depth=2
	v_mov_b32_e32 v37, v35
	s_and_saveexec_b32 vcc_hi, s29
	s_cbranch_execz .LBB6_777
; %bb.774:                              ;   in Loop: Header=BB6_640 Depth=2
	v_mov_b32_e32 v37, v34
	s_or_b32 s13, s11, s12
	s_delay_alu instid0(SALU_CYCLE_1)
	s_and_saveexec_b32 s30, s13
; %bb.775:                              ;   in Loop: Header=BB6_640 Depth=2
	v_cmp_gt_f16_e64 s13, v34, v35
	v_cmp_lt_u16_e32 vcc_lo, 0x7c00, v39
	s_delay_alu instid0(VALU_DEP_2)
	v_cndmask_b32_e64 v37, v35, v34, s13
	s_and_b32 s13, s11, vcc_lo
	s_delay_alu instid0(VALU_DEP_1) | instid1(SALU_CYCLE_1)
	v_cndmask_b32_e64 v37, v37, 0x7fff, s13
; %bb.776:                              ;   in Loop: Header=BB6_640 Depth=2
	s_or_b32 exec_lo, exec_lo, s30
.LBB6_777:                              ;   in Loop: Header=BB6_640 Depth=2
	s_delay_alu instid0(SALU_CYCLE_1)
	s_or_b32 exec_lo, exec_lo, vcc_hi
	s_mov_b32 s13, 0
.LBB6_778:                              ;   in Loop: Header=BB6_640 Depth=2
	s_delay_alu instid0(SALU_CYCLE_1)
	s_and_not1_b32 vcc_lo, exec_lo, s13
	s_cbranch_vccnz .LBB6_784
; %bb.779:                              ;   in Loop: Header=BB6_640 Depth=2
	s_and_saveexec_b32 s13, s29
	s_cbranch_execz .LBB6_783
; %bb.780:                              ;   in Loop: Header=BB6_640 Depth=2
	s_or_b32 s12, s11, s12
	s_delay_alu instid0(SALU_CYCLE_1)
	s_and_saveexec_b32 s29, s12
; %bb.781:                              ;   in Loop: Header=BB6_640 Depth=2
	v_cmp_gt_f16_e64 s12, v34, v35
	v_cmp_lt_u16_e32 vcc_lo, 0x7c00, v39
	s_delay_alu instid0(VALU_DEP_2)
	v_cndmask_b32_e64 v34, v34, v35, s12
	s_and_b32 s11, s11, vcc_lo
	s_delay_alu instid0(VALU_DEP_1) | instid1(SALU_CYCLE_1)
	v_cndmask_b32_e64 v34, v34, 0x7fff, s11
; %bb.782:                              ;   in Loop: Header=BB6_640 Depth=2
	s_or_b32 exec_lo, exec_lo, s29
	s_delay_alu instid0(VALU_DEP_1)
	v_mov_b32_e32 v35, v34
.LBB6_783:                              ;   in Loop: Header=BB6_640 Depth=2
	s_or_b32 exec_lo, exec_lo, s13
	s_delay_alu instid0(VALU_DEP_1)
	v_mov_b32_e32 v37, v35
.LBB6_784:                              ;   in Loop: Header=BB6_640 Depth=2
	v_and_b32_e32 v34, 0x7fff, v29
	s_waitcnt vmcnt(3) lgkmcnt(3)
	v_and_b32_e32 v35, 0x7fff, v32
	s_mov_b32 s13, -1
	s_and_not1_b32 vcc_lo, exec_lo, s27
	v_cmp_lt_u16_e64 s11, 0x7c00, v34
	s_delay_alu instid0(VALU_DEP_2) | instskip(NEXT) | instid1(VALU_DEP_1)
	v_cmp_gt_u16_e64 s12, 0x7c01, v35
                                        ; implicit-def: $vgpr34
	s_and_b32 s29, s11, s12
	s_delay_alu instid0(SALU_CYCLE_1)
	s_xor_b32 s29, s29, -1
	s_cbranch_vccnz .LBB6_790
; %bb.785:                              ;   in Loop: Header=BB6_640 Depth=2
	v_mov_b32_e32 v34, v32
	s_and_saveexec_b32 vcc_hi, s29
	s_cbranch_execz .LBB6_789
; %bb.786:                              ;   in Loop: Header=BB6_640 Depth=2
	v_mov_b32_e32 v34, v29
	s_or_b32 s13, s11, s12
	s_delay_alu instid0(SALU_CYCLE_1)
	s_and_saveexec_b32 s30, s13
; %bb.787:                              ;   in Loop: Header=BB6_640 Depth=2
	v_cmp_gt_f16_e64 s13, v29, v32
	v_cmp_lt_u16_e32 vcc_lo, 0x7c00, v35
	s_delay_alu instid0(VALU_DEP_2)
	v_cndmask_b32_e64 v34, v32, v29, s13
	s_and_b32 s13, s11, vcc_lo
	s_delay_alu instid0(VALU_DEP_1) | instid1(SALU_CYCLE_1)
	v_cndmask_b32_e64 v34, v34, 0x7fff, s13
; %bb.788:                              ;   in Loop: Header=BB6_640 Depth=2
	s_or_b32 exec_lo, exec_lo, s30
.LBB6_789:                              ;   in Loop: Header=BB6_640 Depth=2
	s_delay_alu instid0(SALU_CYCLE_1)
	s_or_b32 exec_lo, exec_lo, vcc_hi
	s_mov_b32 s13, 0
.LBB6_790:                              ;   in Loop: Header=BB6_640 Depth=2
	s_delay_alu instid0(SALU_CYCLE_1)
	s_and_not1_b32 vcc_lo, exec_lo, s13
	s_cbranch_vccnz .LBB6_796
; %bb.791:                              ;   in Loop: Header=BB6_640 Depth=2
	s_and_saveexec_b32 s13, s29
	s_cbranch_execz .LBB6_795
; %bb.792:                              ;   in Loop: Header=BB6_640 Depth=2
	s_or_b32 s12, s11, s12
	s_delay_alu instid0(SALU_CYCLE_1)
	s_and_saveexec_b32 s29, s12
; %bb.793:                              ;   in Loop: Header=BB6_640 Depth=2
	v_cmp_gt_f16_e64 s12, v29, v32
	v_cmp_lt_u16_e32 vcc_lo, 0x7c00, v35
	s_delay_alu instid0(VALU_DEP_2)
	v_cndmask_b32_e64 v29, v29, v32, s12
	s_and_b32 s11, s11, vcc_lo
	s_delay_alu instid0(VALU_DEP_1) | instid1(SALU_CYCLE_1)
	v_cndmask_b32_e64 v29, v29, 0x7fff, s11
; %bb.794:                              ;   in Loop: Header=BB6_640 Depth=2
	s_or_b32 exec_lo, exec_lo, s29
	s_delay_alu instid0(VALU_DEP_1)
	v_mov_b32_e32 v32, v29
.LBB6_795:                              ;   in Loop: Header=BB6_640 Depth=2
	s_or_b32 exec_lo, exec_lo, s13
	s_delay_alu instid0(VALU_DEP_1)
	v_mov_b32_e32 v34, v32
.LBB6_796:                              ;   in Loop: Header=BB6_640 Depth=2
	v_and_b32_e32 v29, 0x7fff, v26
	s_waitcnt vmcnt(2) lgkmcnt(2)
	v_and_b32_e32 v32, 0x7fff, v27
	s_mov_b32 s13, -1
	s_and_not1_b32 vcc_lo, exec_lo, s27
	v_cmp_lt_u16_e64 s11, 0x7c00, v29
	s_delay_alu instid0(VALU_DEP_2) | instskip(NEXT) | instid1(VALU_DEP_1)
	v_cmp_gt_u16_e64 s12, 0x7c01, v32
                                        ; implicit-def: $vgpr29
	s_and_b32 s29, s11, s12
	s_delay_alu instid0(SALU_CYCLE_1)
	s_xor_b32 s29, s29, -1
	s_cbranch_vccnz .LBB6_802
; %bb.797:                              ;   in Loop: Header=BB6_640 Depth=2
	v_mov_b32_e32 v29, v27
	s_and_saveexec_b32 vcc_hi, s29
	s_cbranch_execz .LBB6_801
; %bb.798:                              ;   in Loop: Header=BB6_640 Depth=2
	v_mov_b32_e32 v29, v26
	s_or_b32 s13, s11, s12
	s_delay_alu instid0(SALU_CYCLE_1)
	s_and_saveexec_b32 s30, s13
; %bb.799:                              ;   in Loop: Header=BB6_640 Depth=2
	v_cmp_gt_f16_e64 s13, v26, v27
	v_cmp_lt_u16_e32 vcc_lo, 0x7c00, v32
	s_delay_alu instid0(VALU_DEP_2)
	v_cndmask_b32_e64 v29, v27, v26, s13
	s_and_b32 s13, s11, vcc_lo
	s_delay_alu instid0(VALU_DEP_1) | instid1(SALU_CYCLE_1)
	v_cndmask_b32_e64 v29, v29, 0x7fff, s13
; %bb.800:                              ;   in Loop: Header=BB6_640 Depth=2
	s_or_b32 exec_lo, exec_lo, s30
.LBB6_801:                              ;   in Loop: Header=BB6_640 Depth=2
	s_delay_alu instid0(SALU_CYCLE_1)
	s_or_b32 exec_lo, exec_lo, vcc_hi
	s_mov_b32 s13, 0
.LBB6_802:                              ;   in Loop: Header=BB6_640 Depth=2
	s_delay_alu instid0(SALU_CYCLE_1)
	s_and_not1_b32 vcc_lo, exec_lo, s13
	s_cbranch_vccnz .LBB6_808
; %bb.803:                              ;   in Loop: Header=BB6_640 Depth=2
	s_and_saveexec_b32 s13, s29
	s_cbranch_execz .LBB6_807
; %bb.804:                              ;   in Loop: Header=BB6_640 Depth=2
	s_or_b32 s12, s11, s12
	s_delay_alu instid0(SALU_CYCLE_1)
	s_and_saveexec_b32 s29, s12
; %bb.805:                              ;   in Loop: Header=BB6_640 Depth=2
	v_cmp_gt_f16_e64 s12, v26, v27
	v_cmp_lt_u16_e32 vcc_lo, 0x7c00, v32
	s_delay_alu instid0(VALU_DEP_2)
	v_cndmask_b32_e64 v26, v26, v27, s12
	s_and_b32 s11, s11, vcc_lo
	s_delay_alu instid0(VALU_DEP_1) | instid1(SALU_CYCLE_1)
	v_cndmask_b32_e64 v26, v26, 0x7fff, s11
; %bb.806:                              ;   in Loop: Header=BB6_640 Depth=2
	s_or_b32 exec_lo, exec_lo, s29
	s_delay_alu instid0(VALU_DEP_1)
	v_mov_b32_e32 v27, v26
.LBB6_807:                              ;   in Loop: Header=BB6_640 Depth=2
	s_or_b32 exec_lo, exec_lo, s13
	s_delay_alu instid0(VALU_DEP_1)
	v_mov_b32_e32 v29, v27
.LBB6_808:                              ;   in Loop: Header=BB6_640 Depth=2
	v_and_b32_e32 v26, 0x7fff, v23
	s_waitcnt vmcnt(1) lgkmcnt(1)
	v_and_b32_e32 v27, 0x7fff, v24
	s_mov_b32 s13, -1
	s_and_not1_b32 vcc_lo, exec_lo, s27
	v_cmp_lt_u16_e64 s11, 0x7c00, v26
	s_delay_alu instid0(VALU_DEP_2) | instskip(NEXT) | instid1(VALU_DEP_1)
	v_cmp_gt_u16_e64 s12, 0x7c01, v27
                                        ; implicit-def: $vgpr26
	s_and_b32 s29, s11, s12
	s_delay_alu instid0(SALU_CYCLE_1)
	s_xor_b32 s29, s29, -1
	s_cbranch_vccnz .LBB6_814
; %bb.809:                              ;   in Loop: Header=BB6_640 Depth=2
	v_mov_b32_e32 v26, v24
	s_and_saveexec_b32 vcc_hi, s29
	s_cbranch_execz .LBB6_813
; %bb.810:                              ;   in Loop: Header=BB6_640 Depth=2
	v_mov_b32_e32 v26, v23
	s_or_b32 s13, s11, s12
	s_delay_alu instid0(SALU_CYCLE_1)
	s_and_saveexec_b32 s30, s13
; %bb.811:                              ;   in Loop: Header=BB6_640 Depth=2
	v_cmp_gt_f16_e64 s13, v23, v24
	v_cmp_lt_u16_e32 vcc_lo, 0x7c00, v27
	s_delay_alu instid0(VALU_DEP_2)
	v_cndmask_b32_e64 v26, v24, v23, s13
	s_and_b32 s13, s11, vcc_lo
	s_delay_alu instid0(VALU_DEP_1) | instid1(SALU_CYCLE_1)
	v_cndmask_b32_e64 v26, v26, 0x7fff, s13
; %bb.812:                              ;   in Loop: Header=BB6_640 Depth=2
	s_or_b32 exec_lo, exec_lo, s30
.LBB6_813:                              ;   in Loop: Header=BB6_640 Depth=2
	s_delay_alu instid0(SALU_CYCLE_1)
	s_or_b32 exec_lo, exec_lo, vcc_hi
	s_mov_b32 s13, 0
.LBB6_814:                              ;   in Loop: Header=BB6_640 Depth=2
	s_delay_alu instid0(SALU_CYCLE_1)
	s_and_not1_b32 vcc_lo, exec_lo, s13
	s_cbranch_vccnz .LBB6_820
; %bb.815:                              ;   in Loop: Header=BB6_640 Depth=2
	s_and_saveexec_b32 s13, s29
	s_cbranch_execz .LBB6_819
; %bb.816:                              ;   in Loop: Header=BB6_640 Depth=2
	s_or_b32 s12, s11, s12
	s_delay_alu instid0(SALU_CYCLE_1)
	s_and_saveexec_b32 s29, s12
; %bb.817:                              ;   in Loop: Header=BB6_640 Depth=2
	v_cmp_gt_f16_e64 s12, v23, v24
	v_cmp_lt_u16_e32 vcc_lo, 0x7c00, v27
	s_delay_alu instid0(VALU_DEP_2)
	v_cndmask_b32_e64 v23, v23, v24, s12
	s_and_b32 s11, s11, vcc_lo
	s_delay_alu instid0(VALU_DEP_1) | instid1(SALU_CYCLE_1)
	v_cndmask_b32_e64 v23, v23, 0x7fff, s11
; %bb.818:                              ;   in Loop: Header=BB6_640 Depth=2
	s_or_b32 exec_lo, exec_lo, s29
	s_delay_alu instid0(VALU_DEP_1)
	v_mov_b32_e32 v24, v23
.LBB6_819:                              ;   in Loop: Header=BB6_640 Depth=2
	s_or_b32 exec_lo, exec_lo, s13
	s_delay_alu instid0(VALU_DEP_1)
	v_mov_b32_e32 v26, v24
.LBB6_820:                              ;   in Loop: Header=BB6_640 Depth=2
	v_and_b32_e32 v23, 0x7fff, v20
	s_waitcnt vmcnt(0) lgkmcnt(0)
	v_and_b32_e32 v24, 0x7fff, v21
	s_mov_b32 s13, -1
	s_and_not1_b32 vcc_lo, exec_lo, s27
	v_cmp_lt_u16_e64 s11, 0x7c00, v23
	s_delay_alu instid0(VALU_DEP_2) | instskip(NEXT) | instid1(VALU_DEP_1)
	v_cmp_gt_u16_e64 s12, 0x7c01, v24
                                        ; implicit-def: $vgpr23
	s_and_b32 s29, s11, s12
	s_delay_alu instid0(SALU_CYCLE_1)
	s_xor_b32 s29, s29, -1
	s_cbranch_vccnz .LBB6_826
; %bb.821:                              ;   in Loop: Header=BB6_640 Depth=2
	v_mov_b32_e32 v23, v21
	s_and_saveexec_b32 vcc_hi, s29
	s_cbranch_execz .LBB6_825
; %bb.822:                              ;   in Loop: Header=BB6_640 Depth=2
	v_mov_b32_e32 v23, v20
	s_or_b32 s13, s11, s12
	s_delay_alu instid0(SALU_CYCLE_1)
	s_and_saveexec_b32 s30, s13
; %bb.823:                              ;   in Loop: Header=BB6_640 Depth=2
	v_cmp_gt_f16_e64 s13, v20, v21
	v_cmp_lt_u16_e32 vcc_lo, 0x7c00, v24
	s_delay_alu instid0(VALU_DEP_2)
	v_cndmask_b32_e64 v23, v21, v20, s13
	s_and_b32 s13, s11, vcc_lo
	s_delay_alu instid0(VALU_DEP_1) | instid1(SALU_CYCLE_1)
	v_cndmask_b32_e64 v23, v23, 0x7fff, s13
; %bb.824:                              ;   in Loop: Header=BB6_640 Depth=2
	s_or_b32 exec_lo, exec_lo, s30
.LBB6_825:                              ;   in Loop: Header=BB6_640 Depth=2
	s_delay_alu instid0(SALU_CYCLE_1)
	s_or_b32 exec_lo, exec_lo, vcc_hi
	s_mov_b32 s13, 0
.LBB6_826:                              ;   in Loop: Header=BB6_640 Depth=2
	s_delay_alu instid0(SALU_CYCLE_1)
	s_and_not1_b32 vcc_lo, exec_lo, s13
	s_cbranch_vccnz .LBB6_639
; %bb.827:                              ;   in Loop: Header=BB6_640 Depth=2
	s_and_saveexec_b32 s13, s29
	s_cbranch_execz .LBB6_638
; %bb.828:                              ;   in Loop: Header=BB6_640 Depth=2
	s_or_b32 s12, s11, s12
	s_delay_alu instid0(SALU_CYCLE_1)
	s_and_saveexec_b32 s29, s12
	s_cbranch_execz .LBB6_637
; %bb.829:                              ;   in Loop: Header=BB6_640 Depth=2
	v_cmp_gt_f16_e64 s12, v20, v21
	v_cmp_lt_u16_e32 vcc_lo, 0x7c00, v24
	s_delay_alu instid0(VALU_DEP_2)
	v_cndmask_b32_e64 v20, v20, v21, s12
	s_and_b32 s11, s11, vcc_lo
	s_delay_alu instid0(VALU_DEP_1) | instid1(SALU_CYCLE_1)
	v_cndmask_b32_e64 v20, v20, 0x7fff, s11
	s_branch .LBB6_637
.LBB6_830:                              ;   in Loop: Header=BB6_53 Depth=1
	s_or_b32 exec_lo, exec_lo, s28
.LBB6_831:                              ;   in Loop: Header=BB6_53 Depth=1
	s_delay_alu instid0(SALU_CYCLE_1) | instskip(SKIP_1) | instid1(VALU_DEP_1)
	s_or_b32 exec_lo, exec_lo, s26
	v_lshlrev_b32_e32 v10, 10, v19
	v_cmp_ne_u32_e32 vcc_lo, v147, v10
	s_and_b32 exec_lo, exec_lo, vcc_lo
	s_cbranch_execz .LBB6_848
; %bb.832:                              ;   in Loop: Header=BB6_53 Depth=1
	v_ashrrev_i32_e32 v11, 31, v17
	v_lshlrev_b32_e32 v12, 5, v18
	s_delay_alu instid0(VALU_DEP_2) | instskip(NEXT) | instid1(VALU_DEP_1)
	v_lshrrev_b32_e32 v11, 27, v11
	v_add_nc_u32_e32 v11, v17, v11
	s_delay_alu instid0(VALU_DEP_1) | instskip(NEXT) | instid1(VALU_DEP_1)
	v_and_b32_e32 v11, 0xffffffe0, v11
	v_sub_nc_u32_e32 v11, v17, v11
	s_delay_alu instid0(VALU_DEP_1) | instskip(NEXT) | instid1(VALU_DEP_1)
	v_sub_nc_u32_e32 v11, v11, v12
	v_ashrrev_i32_e32 v12, 31, v11
	s_delay_alu instid0(VALU_DEP_1) | instskip(NEXT) | instid1(VALU_DEP_1)
	v_lshrrev_b32_e32 v12, 27, v12
	v_add_nc_u32_e32 v12, v11, v12
	s_delay_alu instid0(VALU_DEP_1) | instskip(SKIP_1) | instid1(VALU_DEP_2)
	v_and_b32_e32 v13, 0x7fffffe0, v12
	v_lshlrev_b32_e32 v12, 1, v12
	v_sub_nc_u32_e32 v11, v11, v13
	s_delay_alu instid0(VALU_DEP_2) | instskip(NEXT) | instid1(VALU_DEP_2)
	v_and_b32_e32 v12, 0xffffffc0, v12
	v_lshlrev_b32_e32 v11, 1, v11
	s_delay_alu instid0(VALU_DEP_1) | instskip(NEXT) | instid1(VALU_DEP_1)
	v_add3_u32 v10, v12, v11, v10
	v_sub_nc_u32_e32 v17, v147, v10
	s_delay_alu instid0(VALU_DEP_1)
	v_cmp_lt_i32_e32 vcc_lo, 1, v17
	s_and_b32 exec_lo, exec_lo, vcc_lo
	s_cbranch_execz .LBB6_848
; %bb.833:                              ;   in Loop: Header=BB6_53 Depth=1
	s_cbranch_execnz .LBB6_2278
; %bb.834:                              ;   in Loop: Header=BB6_53 Depth=1
	ds_load_b128 v[11:14], v0
	ds_load_b64 v[18:19], v0
	v_add_nc_u32_e32 v15, v10, v16
	s_bitcmp1_b32 s25, 0
	s_mov_b32 s25, 0
	s_cselect_b32 s26, -1, 0
	s_delay_alu instid0(VALU_DEP_1) | instskip(SKIP_2) | instid1(VALU_DEP_2)
	v_ashrrev_i32_e32 v16, 31, v15
	s_waitcnt lgkmcnt(1)
	v_add_co_u32 v10, vcc_lo, v11, v15
	v_add_co_ci_u32_e32 v11, vcc_lo, v12, v16, vcc_lo
	v_add_co_u32 v12, vcc_lo, v13, v15
	v_add_co_ci_u32_e32 v13, vcc_lo, v14, v16, vcc_lo
	s_waitcnt lgkmcnt(0)
	v_add_co_u32 v14, vcc_lo, v18, v15
	v_add_co_ci_u32_e32 v15, vcc_lo, v19, v16, vcc_lo
	s_branch .LBB6_838
.LBB6_835:                              ;   in Loop: Header=BB6_838 Depth=2
	s_or_b32 exec_lo, exec_lo, s27
	s_delay_alu instid0(VALU_DEP_1)
	v_mov_b32_e32 v18, v16
.LBB6_836:                              ;   in Loop: Header=BB6_838 Depth=2
	s_or_b32 exec_lo, exec_lo, s13
	s_delay_alu instid0(VALU_DEP_1)
	v_mov_b32_e32 v20, v18
.LBB6_837:                              ;   in Loop: Header=BB6_838 Depth=2
	v_add_co_u32 v10, vcc_lo, v10, v135
	v_sub_nc_u32_e32 v17, v17, v130
	v_add_co_ci_u32_e32 v11, vcc_lo, v11, v144, vcc_lo
	v_add_co_u32 v12, vcc_lo, v12, v135
	v_add_co_ci_u32_e32 v13, vcc_lo, v13, v144, vcc_lo
	flat_store_b16 v[14:15], v20 glc slc dlc
	v_cmp_gt_i32_e32 vcc_lo, 2, v17
	v_add_co_u32 v14, s11, v14, v135
	s_delay_alu instid0(VALU_DEP_1) | instskip(SKIP_1) | instid1(SALU_CYCLE_1)
	v_add_co_ci_u32_e64 v15, s11, v15, v144, s11
	s_or_b32 s25, vcc_lo, s25
	s_and_not1_b32 exec_lo, exec_lo, s25
	s_cbranch_execz .LBB6_848
.LBB6_838:                              ;   Parent Loop BB6_53 Depth=1
                                        ; =>  This Inner Loop Header: Depth=2
	flat_load_u16 v16, v[10:11] slc dlc
	flat_load_u16 v18, v[12:13] slc dlc
	s_mov_b32 s13, -1
	s_and_b32 vcc_lo, exec_lo, s26
	s_waitcnt vmcnt(1) lgkmcnt(1)
	v_and_b32_e32 v20, 0x7fff, v16
	s_waitcnt vmcnt(0) lgkmcnt(0)
	v_and_b32_e32 v19, 0x7fff, v18
	s_delay_alu instid0(VALU_DEP_2) | instskip(NEXT) | instid1(VALU_DEP_2)
	v_cmp_lt_u16_e64 s11, 0x7c00, v20
	v_cmp_gt_u16_e64 s12, 0x7c01, v19
                                        ; implicit-def: $vgpr20
	s_delay_alu instid0(VALU_DEP_1) | instskip(NEXT) | instid1(SALU_CYCLE_1)
	s_and_b32 s27, s11, s12
	s_xor_b32 s27, s27, -1
	s_cbranch_vccz .LBB6_844
; %bb.839:                              ;   in Loop: Header=BB6_838 Depth=2
	v_mov_b32_e32 v20, v18
	s_and_saveexec_b32 s28, s27
	s_cbranch_execz .LBB6_843
; %bb.840:                              ;   in Loop: Header=BB6_838 Depth=2
	v_mov_b32_e32 v20, v16
	s_or_b32 s13, s11, s12
	s_delay_alu instid0(SALU_CYCLE_1)
	s_and_saveexec_b32 s29, s13
; %bb.841:                              ;   in Loop: Header=BB6_838 Depth=2
	v_cmp_gt_f16_e64 s13, v16, v18
	v_cmp_lt_u16_e32 vcc_lo, 0x7c00, v19
	s_delay_alu instid0(VALU_DEP_2)
	v_cndmask_b32_e64 v20, v18, v16, s13
	s_and_b32 s13, s11, vcc_lo
	s_delay_alu instid0(VALU_DEP_1) | instid1(SALU_CYCLE_1)
	v_cndmask_b32_e64 v20, v20, 0x7fff, s13
; %bb.842:                              ;   in Loop: Header=BB6_838 Depth=2
	s_or_b32 exec_lo, exec_lo, s29
.LBB6_843:                              ;   in Loop: Header=BB6_838 Depth=2
	s_delay_alu instid0(SALU_CYCLE_1)
	s_or_b32 exec_lo, exec_lo, s28
	s_mov_b32 s13, 0
.LBB6_844:                              ;   in Loop: Header=BB6_838 Depth=2
	s_delay_alu instid0(SALU_CYCLE_1)
	s_and_not1_b32 vcc_lo, exec_lo, s13
	s_cbranch_vccnz .LBB6_837
; %bb.845:                              ;   in Loop: Header=BB6_838 Depth=2
	s_and_saveexec_b32 s13, s27
	s_cbranch_execz .LBB6_836
; %bb.846:                              ;   in Loop: Header=BB6_838 Depth=2
	s_or_b32 s12, s11, s12
	s_delay_alu instid0(SALU_CYCLE_1)
	s_and_saveexec_b32 s27, s12
	s_cbranch_execz .LBB6_835
; %bb.847:                              ;   in Loop: Header=BB6_838 Depth=2
	v_cmp_gt_f16_e64 s12, v16, v18
	v_cmp_lt_u16_e32 vcc_lo, 0x7c00, v19
	s_delay_alu instid0(VALU_DEP_2)
	v_cndmask_b32_e64 v16, v16, v18, s12
	s_and_b32 s11, s11, vcc_lo
	s_delay_alu instid0(VALU_DEP_1) | instid1(SALU_CYCLE_1)
	v_cndmask_b32_e64 v16, v16, 0x7fff, s11
	s_branch .LBB6_835
.LBB6_848:                              ;   in Loop: Header=BB6_53 Depth=1
	s_or_b32 exec_lo, exec_lo, s14
	v_cmp_ne_u32_e64 s11, 0, v146
.LBB6_849:                              ;   in Loop: Header=BB6_53 Depth=1
	s_and_saveexec_b32 s12, s3
	s_cbranch_execz .LBB6_871
; %bb.850:                              ;   in Loop: Header=BB6_53 Depth=1
	s_and_saveexec_b32 s13, s4
	s_delay_alu instid0(SALU_CYCLE_1)
	s_xor_b32 s13, exec_lo, s13
	s_cbranch_execz .LBB6_868
; %bb.851:                              ;   in Loop: Header=BB6_53 Depth=1
	s_and_saveexec_b32 s14, s5
	s_cbranch_execz .LBB6_867
; %bb.852:                              ;   in Loop: Header=BB6_53 Depth=1
	s_mov_b32 s26, exec_lo
	s_mov_b32 s25, exec_lo
	v_mbcnt_lo_u32_b32 v10, s26, 0
	s_waitcnt lgkmcnt(0)
	s_waitcnt_vscnt null, 0x0
	buffer_gl1_inv
	buffer_gl0_inv
	v_cmpx_eq_u32_e32 0, v10
	s_cbranch_execz .LBB6_854
; %bb.853:                              ;   in Loop: Header=BB6_53 Depth=1
	s_bcnt1_i32_b32 s26, s26
	s_delay_alu instid0(SALU_CYCLE_1)
	v_mov_b32_e32 v29, s26
	ds_add_u64 v0, v[29:30]
	s_cbranch_execnz .LBB6_2272
.LBB6_854:                              ;   in Loop: Header=BB6_53 Depth=1
	s_or_b32 exec_lo, exec_lo, s25
	s_cbranch_execnz .LBB6_2250
; %bb.855:                              ;   in Loop: Header=BB6_53 Depth=1
	ds_load_b64 v[10:11], v0
	v_add_co_u32 v68, vcc_lo, v68, v114
	v_add_co_ci_u32_e32 v69, vcc_lo, 0, v69, vcc_lo
	s_mov_b32 s25, exec_lo
	s_waitcnt lgkmcnt(0)
	s_delay_alu instid0(VALU_DEP_1)
	v_cmpx_lt_u64_e64 v[10:11], v[68:69]
	s_cbranch_execz .LBB6_866
; %bb.856:                              ;   in Loop: Header=BB6_53 Depth=1
	s_mov_b32 s26, 0
	s_mov_b32 s29, 0
                                        ; implicit-def: $sgpr27
                                        ; implicit-def: $sgpr28
	s_branch .LBB6_858
.LBB6_857:                              ;   in Loop: Header=BB6_858 Depth=2
	s_or_b32 exec_lo, exec_lo, s30
	s_delay_alu instid0(SALU_CYCLE_1) | instskip(NEXT) | instid1(SALU_CYCLE_1)
	s_and_b32 vcc_lo, exec_lo, vcc_lo
	s_or_b32 s26, vcc_lo, s26
	s_and_not1_b32 s27, s27, exec_lo
	s_and_b32 vcc_lo, s28, exec_lo
	s_delay_alu instid0(SALU_CYCLE_1)
	s_or_b32 s27, s27, vcc_lo
	s_and_not1_b32 exec_lo, exec_lo, s26
	s_cbranch_execz .LBB6_864
.LBB6_858:                              ;   Parent Loop BB6_53 Depth=1
                                        ; =>  This Inner Loop Header: Depth=2
	s_add_i32 s29, s29, 1
                                        ; implicit-def: $sgpr30
	s_delay_alu instid0(SALU_CYCLE_1) | instskip(SKIP_1) | instid1(SALU_CYCLE_1)
	s_cmpk_lg_i32 s29, 0x2710
	s_cselect_b32 vcc_hi, -1, 0
	s_and_b32 vcc_lo, exec_lo, vcc_hi
	s_cbranch_vccz .LBB6_862
.LBB6_859:                              ;   in Loop: Header=BB6_858 Depth=2
	s_and_not1_b32 s28, s28, exec_lo
	s_and_b32 s30, s30, exec_lo
	s_mov_b32 vcc_lo, -1
	s_or_b32 s28, s28, s30
	s_and_saveexec_b32 s30, vcc_hi
	s_cbranch_execz .LBB6_857
; %bb.860:                              ;   in Loop: Header=BB6_858 Depth=2
	s_sleep 1
	s_cbranch_execnz .LBB6_2288
; %bb.861:                              ;   in Loop: Header=BB6_858 Depth=2
	ds_load_b64 v[10:11], v0
	s_and_not1_b32 s28, s28, exec_lo
	s_waitcnt lgkmcnt(0)
	v_cmp_ge_u64_e32 vcc_lo, v[10:11], v[68:69]
	s_or_not1_b32 vcc_lo, vcc_lo, exec_lo
	s_branch .LBB6_857
.LBB6_862:                              ;   in Loop: Header=BB6_858 Depth=2
	s_cbranch_execnz .LBB6_2292
; %bb.863:                              ;   in Loop: Header=BB6_858 Depth=2
	ds_load_b64 v[10:11], v0
	s_mov_b32 s29, 0
	s_mov_b32 s30, -1
	s_waitcnt lgkmcnt(0)
	flat_load_b32 v10, v[10:11] glc
	s_waitcnt vmcnt(0) lgkmcnt(0)
	buffer_gl1_inv
	buffer_gl0_inv
	v_cmp_eq_u32_e32 vcc_lo, 0, v10
	s_and_not1_b32 vcc_hi, vcc_hi, exec_lo
	s_and_b32 vcc_lo, vcc_lo, exec_lo
	s_delay_alu instid0(SALU_CYCLE_1)
	s_or_b32 vcc_hi, vcc_hi, vcc_lo
	s_branch .LBB6_859
.LBB6_864:                              ;   in Loop: Header=BB6_53 Depth=1
	s_or_b32 exec_lo, exec_lo, s26
	s_and_saveexec_b32 s26, s27
	s_delay_alu instid0(SALU_CYCLE_1)
	s_xor_b32 s26, exec_lo, s26
	s_cbranch_execz .LBB6_866
; %bb.865:                              ;   in Loop: Header=BB6_53 Depth=1
	ds_store_b32 v0, v145
	s_cbranch_execnz .LBB6_2316
.LBB6_866:                              ;   in Loop: Header=BB6_53 Depth=1
	s_or_b32 exec_lo, exec_lo, s25
	;;#ASMSTART
	s_wakeup
	;;#ASMEND
.LBB6_867:                              ;   in Loop: Header=BB6_53 Depth=1
	s_or_b32 exec_lo, exec_lo, s14
.LBB6_868:                              ;   in Loop: Header=BB6_53 Depth=1
	s_and_not1_saveexec_b32 s13, s13
	s_cbranch_execz .LBB6_870
; %bb.869:                              ;   in Loop: Header=BB6_53 Depth=1
	s_waitcnt lgkmcnt(0)
	s_waitcnt_vscnt null, 0x0
	buffer_gl1_inv
	buffer_gl0_inv
	s_barrier
.LBB6_870:                              ;   in Loop: Header=BB6_53 Depth=1
	s_or_b32 exec_lo, exec_lo, s13
.LBB6_871:                              ;   in Loop: Header=BB6_53 Depth=1
	s_delay_alu instid0(SALU_CYCLE_1) | instskip(SKIP_1) | instid1(VALU_DEP_1)
	s_or_b32 exec_lo, exec_lo, s12
	v_and_b32_e32 v10, 16, v102
	v_cmp_ne_u32_e32 vcc_lo, 0, v10
	s_and_b32 s12, vcc_lo, s11
	s_delay_alu instid0(SALU_CYCLE_1)
	s_and_saveexec_b32 s11, s12
	s_cbranch_execz .LBB6_873
; %bb.872:                              ;   in Loop: Header=BB6_53 Depth=1
	s_waitcnt lgkmcnt(0)
	s_waitcnt_vscnt null, 0x0
	buffer_gl1_inv
	buffer_gl0_inv
.LBB6_873:                              ;   in Loop: Header=BB6_53 Depth=1
	s_or_b32 exec_lo, exec_lo, s11
	v_cmp_ne_u32_e32 vcc_lo, 0, v10
	s_xor_b32 s11, s10, -1
	s_delay_alu instid0(SALU_CYCLE_1) | instskip(NEXT) | instid1(SALU_CYCLE_1)
	s_and_b32 s12, vcc_lo, s11
	s_and_saveexec_b32 s11, s12
	s_cbranch_execz .LBB6_875
; %bb.874:                              ;   in Loop: Header=BB6_53 Depth=1
	s_waitcnt lgkmcnt(0)
	s_waitcnt_vscnt null, 0x0
	flat_store_b32 v[80:81], v145
.LBB6_875:                              ;   in Loop: Header=BB6_53 Depth=1
	s_or_b32 exec_lo, exec_lo, s11
	v_and_b32_e32 v10, 48, v102
	s_mov_b32 s11, exec_lo
	s_delay_alu instid0(VALU_DEP_1)
	v_cmpx_ne_u32_e32 0, v10
	s_cbranch_execz .LBB6_877
; %bb.876:                              ;   in Loop: Header=BB6_53 Depth=1
	v_add_co_u32 v8, vcc_lo, v8, 1
	v_add_co_ci_u32_e32 v9, vcc_lo, 0, v9, vcc_lo
	s_waitcnt lgkmcnt(0)
	s_waitcnt_vscnt null, 0x0
	flat_store_b64 v[54:55], v[8:9]
.LBB6_877:                              ;   in Loop: Header=BB6_53 Depth=1
	s_or_b32 exec_lo, exec_lo, s11
	v_mov_b32_e32 v12, v87
.LBB6_878:                              ;   in Loop: Header=BB6_53 Depth=1
	s_or_b32 exec_lo, exec_lo, s24
	s_and_saveexec_b32 s12, s23
	s_cbranch_execz .LBB6_938
; %bb.879:                              ;   in Loop: Header=BB6_53 Depth=1
	v_and_b32_e32 v10, 12, v102
	s_mov_b32 s13, -1
	s_mov_b32 s11, exec_lo
	s_delay_alu instid0(VALU_DEP_1)
	v_cmpx_ne_u32_e32 0, v10
	s_cbranch_execz .LBB6_893
; %bb.880:                              ;   in Loop: Header=BB6_53 Depth=1
	v_and_b32_e32 v13, 8, v102
	s_delay_alu instid0(VALU_DEP_1) | instskip(SKIP_4) | instid1(VALU_DEP_1)
	v_add_co_u32 v14, vcc_lo, v66, v13
	v_add_co_ci_u32_e32 v15, vcc_lo, 0, v67, vcc_lo
	s_waitcnt lgkmcnt(0)
	v_add_co_u32 v10, vcc_lo, v8, 1
	v_add_co_ci_u32_e32 v11, vcc_lo, 0, v9, vcc_lo
	v_cmp_lt_u64_e32 vcc_lo, v[14:15], v[10:11]
	v_mov_b32_e32 v14, 1
	s_and_saveexec_b32 s13, vcc_lo
	s_cbranch_execz .LBB6_892
; %bb.881:                              ;   in Loop: Header=BB6_53 Depth=1
	v_mov_b32_e32 v14, 0
	s_mov_b32 s14, 0
                                        ; implicit-def: $sgpr23
	s_branch .LBB6_885
.LBB6_882:                              ;   in Loop: Header=BB6_885 Depth=2
	s_or_b32 exec_lo, exec_lo, s27
	v_mov_b32_e32 v15, 0
	s_or_not1_b32 s26, s26, exec_lo
.LBB6_883:                              ;   in Loop: Header=BB6_885 Depth=2
	s_or_b32 exec_lo, exec_lo, s25
	s_delay_alu instid0(VALU_DEP_1) | instskip(SKIP_2) | instid1(SALU_CYCLE_1)
	v_mov_b32_e32 v14, v15
	s_and_not1_b32 s23, s23, exec_lo
	s_and_b32 s25, s26, exec_lo
	s_or_b32 s23, s23, s25
.LBB6_884:                              ;   in Loop: Header=BB6_885 Depth=2
	s_or_b32 exec_lo, exec_lo, s24
	s_waitcnt vmcnt(0) lgkmcnt(0)
	v_add_co_u32 v15, vcc_lo, v66, v13
	v_add_co_ci_u32_e32 v16, vcc_lo, 0, v67, vcc_lo
	s_xor_b32 s24, s23, -1
	s_delay_alu instid0(VALU_DEP_1) | instskip(SKIP_1) | instid1(SALU_CYCLE_1)
	v_cmp_ge_u64_e32 vcc_lo, v[15:16], v[10:11]
	s_or_b32 s24, s24, vcc_lo
	s_and_b32 s24, exec_lo, s24
	s_delay_alu instid0(SALU_CYCLE_1) | instskip(NEXT) | instid1(SALU_CYCLE_1)
	s_or_b32 s14, s24, s14
	s_and_not1_b32 exec_lo, exec_lo, s14
	s_cbranch_execz .LBB6_891
.LBB6_885:                              ;   Parent Loop BB6_53 Depth=1
                                        ; =>  This Inner Loop Header: Depth=2
	s_sleep 1
	flat_load_b64 v[66:67], v[54:55] glc
	v_and_b32_e32 v15, 64, v102
	s_and_not1_b32 s23, s23, exec_lo
	s_mov_b32 s24, exec_lo
	s_delay_alu instid0(VALU_DEP_1)
	v_cmpx_eq_u32_e32 0, v15
	s_cbranch_execz .LBB6_884
; %bb.886:                              ;   in Loop: Header=BB6_885 Depth=2
	v_add_nc_u32_e32 v15, 1, v14
	s_mov_b32 s26, -1
	s_mov_b32 s25, exec_lo
	v_cmpx_lt_i32_e32 0x270e, v14
	s_cbranch_execz .LBB6_883
; %bb.887:                              ;   in Loop: Header=BB6_885 Depth=2
	s_cbranch_execnz .LBB6_2136
; %bb.888:                              ;   in Loop: Header=BB6_885 Depth=2
	ds_load_b64 v[14:15], v0
	s_mov_b32 s27, exec_lo
	s_waitcnt vmcnt(0) lgkmcnt(0)
	s_waitcnt_vscnt null, 0x0
	flat_load_b32 v14, v[14:15] glc
	s_waitcnt vmcnt(0) lgkmcnt(0)
	buffer_gl1_inv
	buffer_gl0_inv
	v_cmpx_ne_u32_e32 0, v14
	s_cbranch_execz .LBB6_882
; %bb.889:                              ;   in Loop: Header=BB6_885 Depth=2
	ds_store_b32 v0, v14
	s_cbranch_execnz .LBB6_2162
; %bb.890:                              ;   in Loop: Header=BB6_885 Depth=2
	v_or_b32_e32 v102, 64, v102
	s_xor_b32 s26, exec_lo, -1
	s_branch .LBB6_882
.LBB6_891:                              ;   in Loop: Header=BB6_53 Depth=1
	s_or_b32 exec_lo, exec_lo, s14
	v_and_b32_e32 v14, 12, v102
.LBB6_892:                              ;   in Loop: Header=BB6_53 Depth=1
	s_or_b32 exec_lo, exec_lo, s13
	s_delay_alu instid0(VALU_DEP_1)
	v_cmp_eq_u32_e32 vcc_lo, 0, v14
	;;#ASMSTART
	s_wakeup
	;;#ASMEND
	s_or_not1_b32 s13, vcc_lo, exec_lo
.LBB6_893:                              ;   in Loop: Header=BB6_53 Depth=1
	s_or_b32 exec_lo, exec_lo, s11
	v_sub_nc_u32_e32 v10, v86, v12
	s_xor_b32 s11, s13, -1
	s_delay_alu instid0(VALU_DEP_1)
	v_min_i32_e32 v10, v87, v10
	s_and_saveexec_b32 s13, s11
	s_cbranch_execz .LBB6_908
; %bb.894:                              ;   in Loop: Header=BB6_53 Depth=1
	v_and_b32_e32 v11, 0x108, v102
	s_mov_b32 s11, exec_lo
	s_delay_alu instid0(VALU_DEP_1)
	v_cmpx_ne_u32_e32 0x108, v11
	s_xor_b32 s11, exec_lo, s11
                                        ; implicit-def: $vgpr12_vgpr13
	s_cbranch_execz .LBB6_896
; %bb.895:                              ;   in Loop: Header=BB6_53 Depth=1
	s_waitcnt lgkmcnt(0)
	v_and_b32_e32 v12, 7, v8
.LBB6_896:                              ;   in Loop: Header=BB6_53 Depth=1
	s_and_not1_saveexec_b32 s11, s11
	s_cbranch_execz .LBB6_898
; %bb.897:                              ;   in Loop: Header=BB6_53 Depth=1
	s_waitcnt lgkmcnt(0)
	v_and_b32_e32 v12, 7, v8
	v_ashrrev_i32_e32 v11, 31, v10
	s_delay_alu instid0(VALU_DEP_2) | instskip(NEXT) | instid1(VALU_DEP_2)
	v_mad_u64_u32 v[13:14], null, v12, 24, v[6:7]
	v_lshlrev_b64 v[15:16], 1, v[10:11]
	flat_store_b64 v[13:14], v[15:16] offset:8
.LBB6_898:                              ;   in Loop: Header=BB6_53 Depth=1
	s_or_b32 exec_lo, exec_lo, s11
	v_and_b32_e32 v11, 0x100, v102
	s_mov_b32 s11, -1
	s_mov_b32 s14, exec_lo
                                        ; implicit-def: $vgpr13_vgpr14
	s_delay_alu instid0(VALU_DEP_1)
	v_cmpx_ne_u32_e32 0, v11
	s_cbranch_execnz .LBB6_901
; %bb.899:                              ;   in Loop: Header=BB6_53 Depth=1
	s_or_b32 exec_lo, exec_lo, s14
	s_and_saveexec_b32 s14, s11
	s_cbranch_execnz .LBB6_904
.LBB6_900:                              ;   in Loop: Header=BB6_53 Depth=1
	s_or_b32 exec_lo, exec_lo, s14
	s_cbranch_execnz .LBB6_2128
	s_branch .LBB6_905
.LBB6_901:                              ;   in Loop: Header=BB6_53 Depth=1
	v_mad_u64_u32 v[15:16], null, v12, 24, v[6:7]
	s_mov_b32 s23, exec_lo
	s_delay_alu instid0(VALU_DEP_1) | instskip(NEXT) | instid1(VALU_DEP_1)
	v_mov_b32_e32 v11, v16
	v_mad_u64_u32 v[13:14], null, v30, 24, v[11:12]
	s_delay_alu instid0(VALU_DEP_1)
	v_mov_b32_e32 v16, v13
                                        ; implicit-def: $vgpr13_vgpr14
	flat_load_b32 v11, v[15:16]
	s_waitcnt vmcnt(0) lgkmcnt(0)
	v_cmp_ne_u32_e32 vcc_lo, 1, v11
	v_cmpx_eq_u32_e32 1, v11
	s_cbranch_execz .LBB6_903
; %bb.902:                              ;   in Loop: Header=BB6_53 Depth=1
	flat_load_b32 v13, v[15:16] offset:4 glc
	s_waitcnt vmcnt(0) lgkmcnt(0)
	v_ashrrev_i32_e32 v14, 31, v13
	s_delay_alu instid0(VALU_DEP_1)
	v_lshrrev_b64 v[13:14], 1, v[13:14]
.LBB6_903:                              ;   in Loop: Header=BB6_53 Depth=1
	s_or_b32 exec_lo, exec_lo, s23
	s_delay_alu instid0(SALU_CYCLE_1)
	s_or_not1_b32 s11, vcc_lo, exec_lo
	s_or_b32 exec_lo, exec_lo, s14
	s_and_saveexec_b32 s14, s11
	s_cbranch_execz .LBB6_900
.LBB6_904:                              ;   in Loop: Header=BB6_53 Depth=1
	v_mul_lo_u32 v11, v30, v112
	v_mul_lo_u32 v15, v12, v113
	v_mad_u64_u32 v[13:14], null, v12, v112, 0
	s_delay_alu instid0(VALU_DEP_1)
	v_add3_u32 v14, v14, v15, v11
	s_or_b32 exec_lo, exec_lo, s14
	s_cbranch_execnz .LBB6_2128
.LBB6_905:                              ;   in Loop: Header=BB6_53 Depth=1
	s_delay_alu instid0(VALU_DEP_1) | instskip(SKIP_3) | instid1(VALU_DEP_2)
	v_lshlrev_b64 v[11:12], 1, v[13:14]
	v_and_b32_e32 v13, 0x2000, v102
	s_mov_b32 s11, exec_lo
	s_waitcnt lgkmcnt(0)
	v_add_co_u32 v11, vcc_lo, v64, v11
	s_delay_alu instid0(VALU_DEP_3)
	v_add_co_ci_u32_e32 v12, vcc_lo, v65, v12, vcc_lo
	ds_store_b64 v0, v[11:12]
	v_cmpx_ne_u32_e32 0, v13
	s_cbranch_execz .LBB6_907
; %bb.906:                              ;   in Loop: Header=BB6_53 Depth=1
	ds_load_b64 v[11:12], v0 offset:584
	s_waitcnt lgkmcnt(0)
	v_add_co_u32 v11, vcc_lo, v11, 1
	v_add_co_ci_u32_e32 v12, vcc_lo, 0, v12, vcc_lo
	ds_store_b64 v0, v[11:12] offset:584
.LBB6_907:                              ;   in Loop: Header=BB6_53 Depth=1
	s_or_b32 exec_lo, exec_lo, s11
	v_add_co_u32 v8, vcc_lo, v8, 1
	v_add_co_ci_u32_e32 v9, vcc_lo, 0, v9, vcc_lo
.LBB6_908:                              ;   in Loop: Header=BB6_53 Depth=1
	s_or_b32 exec_lo, exec_lo, s13
	s_and_saveexec_b32 s11, s3
	s_cbranch_execz .LBB6_930
; %bb.909:                              ;   in Loop: Header=BB6_53 Depth=1
	s_and_saveexec_b32 s13, s4
	s_delay_alu instid0(SALU_CYCLE_1)
	s_xor_b32 s13, exec_lo, s13
	s_cbranch_execz .LBB6_927
; %bb.910:                              ;   in Loop: Header=BB6_53 Depth=1
	s_and_saveexec_b32 s14, s5
	s_cbranch_execz .LBB6_926
; %bb.911:                              ;   in Loop: Header=BB6_53 Depth=1
	s_mov_b32 s24, exec_lo
	s_mov_b32 s23, exec_lo
	v_mbcnt_lo_u32_b32 v11, s24, 0
	s_waitcnt lgkmcnt(0)
	s_waitcnt_vscnt null, 0x0
	buffer_gl1_inv
	buffer_gl0_inv
	v_cmpx_eq_u32_e32 0, v11
	s_cbranch_execz .LBB6_913
; %bb.912:                              ;   in Loop: Header=BB6_53 Depth=1
	s_bcnt1_i32_b32 s24, s24
	s_delay_alu instid0(SALU_CYCLE_1)
	v_mov_b32_e32 v29, s24
	ds_add_u64 v0, v[29:30]
	s_cbranch_execnz .LBB6_2194
.LBB6_913:                              ;   in Loop: Header=BB6_53 Depth=1
	s_or_b32 exec_lo, exec_lo, s23
	s_cbranch_execnz .LBB6_2178
; %bb.914:                              ;   in Loop: Header=BB6_53 Depth=1
	ds_load_b64 v[11:12], v0
	v_add_co_u32 v68, vcc_lo, v68, v114
	v_add_co_ci_u32_e32 v69, vcc_lo, 0, v69, vcc_lo
	s_mov_b32 s23, exec_lo
	s_waitcnt lgkmcnt(0)
	s_delay_alu instid0(VALU_DEP_1)
	v_cmpx_lt_u64_e64 v[11:12], v[68:69]
	s_cbranch_execz .LBB6_925
; %bb.915:                              ;   in Loop: Header=BB6_53 Depth=1
	s_mov_b32 s24, 0
	s_mov_b32 s27, 0
                                        ; implicit-def: $sgpr25
                                        ; implicit-def: $sgpr26
	s_branch .LBB6_917
.LBB6_916:                              ;   in Loop: Header=BB6_917 Depth=2
	s_or_b32 exec_lo, exec_lo, vcc_hi
	s_delay_alu instid0(SALU_CYCLE_1) | instskip(NEXT) | instid1(SALU_CYCLE_1)
	s_and_b32 s28, exec_lo, s29
	s_or_b32 s24, s28, s24
	s_and_not1_b32 s25, s25, exec_lo
	s_and_b32 s28, s26, exec_lo
	s_delay_alu instid0(SALU_CYCLE_1)
	s_or_b32 s25, s25, s28
	s_and_not1_b32 exec_lo, exec_lo, s24
	s_cbranch_execz .LBB6_923
.LBB6_917:                              ;   Parent Loop BB6_53 Depth=1
                                        ; =>  This Inner Loop Header: Depth=2
	s_add_i32 s27, s27, 1
                                        ; implicit-def: $sgpr29
	s_delay_alu instid0(SALU_CYCLE_1) | instskip(SKIP_1) | instid1(SALU_CYCLE_1)
	s_cmpk_lg_i32 s27, 0x2710
	s_cselect_b32 s28, -1, 0
	s_and_b32 vcc_lo, exec_lo, s28
	s_cbranch_vccz .LBB6_921
.LBB6_918:                              ;   in Loop: Header=BB6_917 Depth=2
	s_and_not1_b32 s26, s26, exec_lo
	s_and_b32 vcc_lo, s29, exec_lo
	s_mov_b32 s29, -1
	s_or_b32 s26, s26, vcc_lo
	s_and_saveexec_b32 vcc_hi, s28
	s_cbranch_execz .LBB6_916
; %bb.919:                              ;   in Loop: Header=BB6_917 Depth=2
	s_sleep 1
	s_cbranch_execnz .LBB6_2230
; %bb.920:                              ;   in Loop: Header=BB6_917 Depth=2
	ds_load_b64 v[11:12], v0
	s_and_not1_b32 s26, s26, exec_lo
	s_waitcnt lgkmcnt(0)
	v_cmp_ge_u64_e32 vcc_lo, v[11:12], v[68:69]
	s_or_not1_b32 s29, vcc_lo, exec_lo
	s_branch .LBB6_916
.LBB6_921:                              ;   in Loop: Header=BB6_917 Depth=2
	s_cbranch_execnz .LBB6_2246
; %bb.922:                              ;   in Loop: Header=BB6_917 Depth=2
	ds_load_b64 v[11:12], v0
	s_and_not1_b32 s28, s28, exec_lo
	s_mov_b32 s27, 0
	s_mov_b32 s29, -1
	s_waitcnt lgkmcnt(0)
	flat_load_b32 v11, v[11:12] glc
	s_waitcnt vmcnt(0) lgkmcnt(0)
	buffer_gl1_inv
	buffer_gl0_inv
	v_cmp_eq_u32_e32 vcc_lo, 0, v11
	s_and_b32 vcc_lo, vcc_lo, exec_lo
	s_delay_alu instid0(SALU_CYCLE_1)
	s_or_b32 s28, s28, vcc_lo
	s_branch .LBB6_918
.LBB6_923:                              ;   in Loop: Header=BB6_53 Depth=1
	s_or_b32 exec_lo, exec_lo, s24
	s_and_saveexec_b32 s24, s25
	s_delay_alu instid0(SALU_CYCLE_1)
	s_xor_b32 s24, exec_lo, s24
	s_cbranch_execz .LBB6_925
; %bb.924:                              ;   in Loop: Header=BB6_53 Depth=1
	ds_store_b32 v0, v145
	s_cbranch_execnz .LBB6_2306
.LBB6_925:                              ;   in Loop: Header=BB6_53 Depth=1
	s_or_b32 exec_lo, exec_lo, s23
	;;#ASMSTART
	s_wakeup
	;;#ASMEND
.LBB6_926:                              ;   in Loop: Header=BB6_53 Depth=1
	s_or_b32 exec_lo, exec_lo, s14
.LBB6_927:                              ;   in Loop: Header=BB6_53 Depth=1
	s_and_not1_saveexec_b32 s13, s13
	s_cbranch_execz .LBB6_929
; %bb.928:                              ;   in Loop: Header=BB6_53 Depth=1
	s_waitcnt lgkmcnt(0)
	s_waitcnt_vscnt null, 0x0
	buffer_gl1_inv
	buffer_gl0_inv
	s_barrier
.LBB6_929:                              ;   in Loop: Header=BB6_53 Depth=1
	s_or_b32 exec_lo, exec_lo, s13
.LBB6_930:                              ;   in Loop: Header=BB6_53 Depth=1
	s_delay_alu instid0(SALU_CYCLE_1)
	s_or_b32 exec_lo, exec_lo, s11
	s_cbranch_execnz .LBB6_2117
; %bb.931:                              ;   in Loop: Header=BB6_53 Depth=1
	ds_load_b32 v11, v0
	v_cmp_lt_i32_e32 vcc_lo, 0, v10
	s_waitcnt lgkmcnt(0)
	v_readfirstlane_b32 s11, v11
	v_and_b32_e32 v11, 16, v102
	s_delay_alu instid0(VALU_DEP_2) | instskip(NEXT) | instid1(VALU_DEP_1)
	s_cmp_eq_u32 s11, 0
	v_cmp_ne_u32_e64 s11, 0, v11
	s_cselect_b32 s13, -1, 0
	s_delay_alu instid0(SALU_CYCLE_1)
	s_and_b32 s13, vcc_lo, s13
	s_delay_alu instid0(VALU_DEP_1) | instid1(SALU_CYCLE_1)
	s_and_b32 s13, s11, s13
	s_delay_alu instid0(SALU_CYCLE_1)
	s_and_saveexec_b32 s11, s13
	s_cbranch_execz .LBB6_933
; %bb.932:                              ;   in Loop: Header=BB6_53 Depth=1
	s_waitcnt_vscnt null, 0x0
	buffer_gl1_inv
	buffer_gl0_inv
.LBB6_933:                              ;   in Loop: Header=BB6_53 Depth=1
	s_or_b32 exec_lo, exec_lo, s11
	v_cmp_ne_u32_e32 vcc_lo, 0, v11
	s_xor_b32 s11, s10, -1
	s_delay_alu instid0(SALU_CYCLE_1) | instskip(NEXT) | instid1(SALU_CYCLE_1)
	s_and_b32 s13, vcc_lo, s11
	s_and_saveexec_b32 s11, s13
	s_cbranch_execz .LBB6_935
; %bb.934:                              ;   in Loop: Header=BB6_53 Depth=1
	s_waitcnt_vscnt null, 0x0
	flat_store_b32 v[80:81], v145
.LBB6_935:                              ;   in Loop: Header=BB6_53 Depth=1
	s_or_b32 exec_lo, exec_lo, s11
	v_and_b32_e32 v10, 48, v102
	s_mov_b32 s11, exec_lo
	s_delay_alu instid0(VALU_DEP_1)
	v_cmpx_ne_u32_e32 0, v10
	s_cbranch_execz .LBB6_937
; %bb.936:                              ;   in Loop: Header=BB6_53 Depth=1
	v_add_co_u32 v8, vcc_lo, v8, 1
	v_add_co_ci_u32_e32 v9, vcc_lo, 0, v9, vcc_lo
	s_waitcnt lgkmcnt(0)
	s_waitcnt_vscnt null, 0x0
	flat_store_b64 v[54:55], v[8:9]
.LBB6_937:                              ;   in Loop: Header=BB6_53 Depth=1
	s_or_b32 exec_lo, exec_lo, s11
.LBB6_938:                              ;   in Loop: Header=BB6_53 Depth=1
	s_delay_alu instid0(SALU_CYCLE_1) | instskip(SKIP_2) | instid1(VALU_DEP_1)
	s_or_b32 exec_lo, exec_lo, s12
	v_add_co_u32 v84, vcc_lo, v84, v70
	v_add_co_ci_u32_e32 v85, vcc_lo, 0, v85, vcc_lo
	v_cmp_ge_u64_e32 vcc_lo, v[84:85], v[4:5]
	s_or_b32 s20, vcc_lo, s20
	s_delay_alu instid0(SALU_CYCLE_1)
	s_and_not1_b32 exec_lo, exec_lo, s20
	s_cbranch_execnz .LBB6_53
; %bb.939:
	s_or_b32 exec_lo, exec_lo, s20
.LBB6_940:
	s_delay_alu instid0(SALU_CYCLE_1)
	s_or_b32 exec_lo, exec_lo, s19
                                        ; implicit-def: $vgpr82_vgpr83
                                        ; implicit-def: $vgpr4_vgpr5
                                        ; implicit-def: $vgpr112
                                        ; implicit-def: $vgpr66_vgpr67
                                        ; implicit-def: $vgpr64_vgpr65
                                        ; implicit-def: $vgpr54_vgpr55
                                        ; implicit-def: $vgpr0
                                        ; implicit-def: $vgpr22
                                        ; implicit-def: $vgpr70_vgpr71
.LBB6_941:
	s_and_not1_saveexec_b32 s13, s18
	s_cbranch_execz .LBB6_1821
; %bb.942:
	v_mov_b32_e32 v68, 0
	v_mov_b32_e32 v69, 0
	s_and_saveexec_b32 s14, s1
	s_cbranch_execz .LBB6_1820
; %bb.943:
	v_cmp_ge_i32_e64 s1, v0, v1
	s_cbranch_execnz .LBB6_2073
; %bb.944:
	v_ashrrev_i32_e32 v10, 31, v0
	v_lshrrev_b32_e32 v87, 5, v1
	v_dual_mov_b32 v30, 0 :: v_dual_and_b32 v11, 31, v31
	s_lshr_b32 s4, s16, 27
	s_delay_alu instid0(VALU_DEP_3)
	v_lshrrev_b32_e32 v10, 27, v10
	s_waitcnt lgkmcnt(2)
	v_dual_mov_b32 v80, 0 :: v_dual_lshlrev_b32 v101, 9, v87
	s_add_i32 s10, s16, s4
	v_cmp_eq_u32_e64 s4, 0, v11
	v_dual_mov_b32 v81, 0 :: v_dual_add_nc_u32 v10, v0, v10
	s_delay_alu instid0(VALU_DEP_3) | instskip(SKIP_2) | instid1(VALU_DEP_4)
	v_add_nc_u32_e32 v14, 0xfffffe00, v101
	v_lshlrev_b32_e32 v114, 6, v87
	v_cmp_eq_u32_e32 vcc_lo, 32, v1
	v_dual_mov_b32 v133, 1 :: v_dual_and_b32 v12, 0xffffffe0, v10
	v_ashrrev_i32_e32 v100, 5, v10
	v_lshl_add_u32 v10, v87, 11, 0xfffff800
	v_add_co_u32 v119, s7, 0x200, v14
	s_delay_alu instid0(VALU_DEP_4) | instskip(NEXT) | instid1(VALU_DEP_4)
	v_sub_nc_u32_e32 v113, v0, v12
	v_dual_mov_b32 v68, v80 :: v_dual_lshlrev_b32 v11, 11, v100
	v_lshl_add_u32 v12, v87, 10, 0xfffffc00
	v_ashrrev_i32_e32 v13, 31, v10
	v_add_co_u32 v116, s5, 0x800, v10
	v_ashrrev_i32_e32 v10, 31, v14
	v_lshl_add_u32 v115, v113, 4, v11
	v_mov_b32_e32 v69, v81
	v_subrev_nc_u32_e32 v11, 64, v114
	v_add_co_ci_u32_e64 v117, s5, 0, v13, s5
	v_add_co_ci_u32_e64 v128, s7, 0, v10, s7
	v_ashrrev_i32_e32 v10, 31, v12
	v_add_co_u32 v129, s7, 0x400, v12
	v_cmp_ne_u32_e64 s2, 32, v1
	v_cmp_ne_u32_e64 s3, v103, v1
	s_delay_alu instid0(VALU_DEP_4)
	v_add_co_ci_u32_e64 v130, s7, 0, v10, s7
	v_ashrrev_i32_e32 v10, 31, v11
	v_add_co_u32 v131, s7, v11, 64
	v_cmp_le_i32_e64 s5, v113, v22
	v_cmp_gt_i32_e64 s6, 1, v113
	v_ashrrev_i32_e32 v118, 31, v115
	v_add_co_ci_u32_e64 v132, s7, 0, v10, s7
	s_ashr_i32 s19, s10, 5
	s_mov_b32 s18, 0
	s_xor_b32 s20, vcc_lo, -1
.LBB6_945:                              ; =>This Loop Header: Depth=1
                                        ;     Child Loop BB6_955 Depth 2
                                        ;     Child Loop BB6_982 Depth 2
	;; [unrolled: 1-line block ×10, first 2 shown]
	v_sub_co_u32 v10, vcc_lo, v4, v80
	v_sub_co_ci_u32_e32 v11, vcc_lo, v5, v81, vcc_lo
	v_mov_b32_e32 v14, 0
	s_delay_alu instid0(VALU_DEP_2) | instskip(SKIP_2) | instid1(VALU_DEP_2)
	v_cmp_lt_u64_e32 vcc_lo, v[70:71], v[10:11]
	v_cndmask_b32_e32 v84, v10, v70, vcc_lo
	v_cndmask_b32_e64 v85, v11, 0, vcc_lo
	v_add_nc_u32_e32 v10, 15, v84
	s_delay_alu instid0(VALU_DEP_2) | instskip(NEXT) | instid1(VALU_DEP_2)
	v_cmp_eq_u64_e32 vcc_lo, 0, v[84:85]
	v_and_b32_e32 v10, 0x3ffffff0, v10
	s_or_b32 s21, s1, vcc_lo
	s_delay_alu instid0(SALU_CYCLE_1) | instskip(NEXT) | instid1(VALU_DEP_1)
	s_xor_b32 s7, s21, -1
	v_max_i32_e32 v134, s19, v10
	s_and_saveexec_b32 s22, s7
	s_cbranch_execz .LBB6_1765
; %bb.946:                              ;   in Loop: Header=BB6_945 Depth=1
	s_and_saveexec_b32 s10, s0
	s_cbranch_execz .LBB6_949
; %bb.947:                              ;   in Loop: Header=BB6_945 Depth=1
	s_cbranch_execnz .LBB6_2107
; %bb.948:                              ;   in Loop: Header=BB6_945 Depth=1
	ds_load_2addr_b64 v[10:13], v0 offset1:1
	ds_load_b64 v[14:15], v0
	v_add_co_u32 v16, vcc_lo, v80, v82
	v_add_co_ci_u32_e32 v17, vcc_lo, v81, v83, vcc_lo
	s_delay_alu instid0(VALU_DEP_1) | instskip(SKIP_1) | instid1(VALU_DEP_1)
	v_lshlrev_b64 v[16:17], 1, v[16:17]
	s_waitcnt lgkmcnt(1)
	v_add_co_u32 v10, vcc_lo, v10, v16
	s_delay_alu instid0(VALU_DEP_2)
	v_add_co_ci_u32_e32 v11, vcc_lo, v11, v17, vcc_lo
	s_waitcnt lgkmcnt(0)
	v_add_co_u32 v18, vcc_lo, v14, v16
	v_add_co_ci_u32_e32 v19, vcc_lo, v15, v17, vcc_lo
	v_cmp_ne_u64_e32 vcc_lo, 0, v[14:15]
	v_add_co_u32 v12, s7, v12, v16
	s_delay_alu instid0(VALU_DEP_1) | instskip(NEXT) | instid1(VALU_DEP_4)
	v_add_co_ci_u32_e64 v13, s7, v13, v17, s7
	v_dual_cndmask_b32 v15, 0, v19 :: v_dual_cndmask_b32 v14, 0, v18
	ds_store_b64 v0, v[10:11]
	ds_store_b64 v0, v[12:13]
	ds_store_b64 v0, v[14:15]
.LBB6_949:                              ;   in Loop: Header=BB6_945 Depth=1
	s_or_b32 exec_lo, exec_lo, s10
	v_and_b32_e32 v10, 4, v102
	s_mov_b32 s10, -1
	s_mov_b32 s7, exec_lo
	s_delay_alu instid0(VALU_DEP_1)
	v_cmpx_ne_u32_e32 0, v10
	s_cbranch_execz .LBB6_963
; %bb.950:                              ;   in Loop: Header=BB6_945 Depth=1
	s_waitcnt lgkmcnt(0)
	v_add_co_u32 v10, vcc_lo, v8, 1
	v_add_co_ci_u32_e32 v11, vcc_lo, 0, v9, vcc_lo
	v_mov_b32_e32 v12, 1
	s_mov_b32 s10, exec_lo
	s_delay_alu instid0(VALU_DEP_2)
	v_cmpx_lt_u64_e64 v[66:67], v[10:11]
	s_cbranch_execz .LBB6_962
; %bb.951:                              ;   in Loop: Header=BB6_945 Depth=1
	v_mov_b32_e32 v12, 0
	s_mov_b32 s11, 0
                                        ; implicit-def: $sgpr12
	s_branch .LBB6_955
.LBB6_952:                              ;   in Loop: Header=BB6_955 Depth=2
	s_or_b32 exec_lo, exec_lo, s26
	v_mov_b32_e32 v13, 0
	s_or_not1_b32 s25, s25, exec_lo
.LBB6_953:                              ;   in Loop: Header=BB6_955 Depth=2
	s_or_b32 exec_lo, exec_lo, s24
	s_delay_alu instid0(VALU_DEP_1) | instskip(SKIP_2) | instid1(SALU_CYCLE_1)
	v_mov_b32_e32 v12, v13
	s_and_not1_b32 s12, s12, exec_lo
	s_and_b32 s24, s25, exec_lo
	s_or_b32 s12, s12, s24
.LBB6_954:                              ;   in Loop: Header=BB6_955 Depth=2
	s_or_b32 exec_lo, exec_lo, s23
	s_waitcnt vmcnt(0) lgkmcnt(0)
	v_cmp_ge_u64_e32 vcc_lo, v[66:67], v[10:11]
	s_xor_b32 s23, s12, -1
	s_delay_alu instid0(SALU_CYCLE_1) | instskip(NEXT) | instid1(SALU_CYCLE_1)
	s_or_b32 s23, s23, vcc_lo
	s_and_b32 s23, exec_lo, s23
	s_delay_alu instid0(SALU_CYCLE_1) | instskip(NEXT) | instid1(SALU_CYCLE_1)
	s_or_b32 s11, s23, s11
	s_and_not1_b32 exec_lo, exec_lo, s11
	s_cbranch_execz .LBB6_961
.LBB6_955:                              ;   Parent Loop BB6_945 Depth=1
                                        ; =>  This Inner Loop Header: Depth=2
	s_sleep 1
	flat_load_b64 v[66:67], v[54:55] glc
	v_and_b32_e32 v13, 64, v102
	s_and_not1_b32 s12, s12, exec_lo
	s_mov_b32 s23, exec_lo
	s_delay_alu instid0(VALU_DEP_1)
	v_cmpx_eq_u32_e32 0, v13
	s_cbranch_execz .LBB6_954
; %bb.956:                              ;   in Loop: Header=BB6_955 Depth=2
	v_add_nc_u32_e32 v13, 1, v12
	s_mov_b32 s25, -1
	s_mov_b32 s24, exec_lo
	v_cmpx_lt_i32_e32 0x270e, v12
	s_cbranch_execz .LBB6_953
; %bb.957:                              ;   in Loop: Header=BB6_955 Depth=2
	s_cbranch_execnz .LBB6_2130
; %bb.958:                              ;   in Loop: Header=BB6_955 Depth=2
	ds_load_b64 v[12:13], v0
	s_mov_b32 s26, exec_lo
	s_waitcnt vmcnt(0) lgkmcnt(0)
	s_waitcnt_vscnt null, 0x0
	flat_load_b32 v12, v[12:13] glc
	s_waitcnt vmcnt(0) lgkmcnt(0)
	buffer_gl1_inv
	buffer_gl0_inv
	v_cmpx_ne_u32_e32 0, v12
	s_cbranch_execz .LBB6_952
; %bb.959:                              ;   in Loop: Header=BB6_955 Depth=2
	ds_store_b32 v0, v12
	s_cbranch_execnz .LBB6_2158
; %bb.960:                              ;   in Loop: Header=BB6_955 Depth=2
	v_or_b32_e32 v102, 64, v102
	s_xor_b32 s25, exec_lo, -1
	s_branch .LBB6_952
.LBB6_961:                              ;   in Loop: Header=BB6_945 Depth=1
	s_or_b32 exec_lo, exec_lo, s11
	v_and_b32_e32 v12, 4, v102
.LBB6_962:                              ;   in Loop: Header=BB6_945 Depth=1
	s_or_b32 exec_lo, exec_lo, s10
	s_delay_alu instid0(VALU_DEP_1)
	v_cmp_eq_u32_e32 vcc_lo, 0, v12
	;;#ASMSTART
	s_wakeup
	;;#ASMEND
	s_or_not1_b32 s10, vcc_lo, exec_lo
.LBB6_963:                              ;   in Loop: Header=BB6_945 Depth=1
	s_or_b32 exec_lo, exec_lo, s7
	s_xor_b32 s7, s10, -1
	s_delay_alu instid0(SALU_CYCLE_1)
	s_and_saveexec_b32 s10, s7
	s_cbranch_execz .LBB6_973
; %bb.964:                              ;   in Loop: Header=BB6_945 Depth=1
	v_and_b32_e32 v10, 0x100, v102
	s_waitcnt lgkmcnt(0)
	v_and_b32_e32 v14, 7, v8
	s_mov_b32 s7, -1
	s_delay_alu instid0(VALU_DEP_2)
	v_cmp_ne_u32_e32 vcc_lo, 0, v10
                                        ; implicit-def: $vgpr10_vgpr11
	s_and_saveexec_b32 s11, vcc_lo
	s_cbranch_execz .LBB6_968
; %bb.965:                              ;   in Loop: Header=BB6_945 Depth=1
	v_mad_u64_u32 v[12:13], null, v14, 24, v[6:7]
	flat_load_b32 v10, v[12:13]
	s_waitcnt vmcnt(0) lgkmcnt(0)
	v_cmp_ne_u32_e32 vcc_lo, 1, v10
	v_cmp_eq_u32_e64 s7, 1, v10
                                        ; implicit-def: $vgpr10_vgpr11
	s_delay_alu instid0(VALU_DEP_1)
	s_and_saveexec_b32 s12, s7
	s_cbranch_execz .LBB6_967
; %bb.966:                              ;   in Loop: Header=BB6_945 Depth=1
	flat_load_b32 v10, v[12:13] offset:4 glc
	s_waitcnt vmcnt(0) lgkmcnt(0)
	v_ashrrev_i32_e32 v11, 31, v10
	s_delay_alu instid0(VALU_DEP_1)
	v_lshrrev_b64 v[10:11], 1, v[10:11]
.LBB6_967:                              ;   in Loop: Header=BB6_945 Depth=1
	s_or_b32 exec_lo, exec_lo, s12
	s_delay_alu instid0(SALU_CYCLE_1)
	s_or_not1_b32 s7, vcc_lo, exec_lo
.LBB6_968:                              ;   in Loop: Header=BB6_945 Depth=1
	s_or_b32 exec_lo, exec_lo, s11
	s_and_saveexec_b32 s11, s7
; %bb.969:                              ;   in Loop: Header=BB6_945 Depth=1
	v_mad_i64_i32 v[10:11], null, v14, v112, 0
; %bb.970:                              ;   in Loop: Header=BB6_945 Depth=1
	s_or_b32 exec_lo, exec_lo, s11
	s_delay_alu instid0(VALU_DEP_1) | instskip(SKIP_2) | instid1(VALU_DEP_2)
	v_lshlrev_b64 v[10:11], 1, v[10:11]
	v_and_b32_e32 v12, 0x2000, v102
	s_mov_b32 s7, exec_lo
	v_add_co_u32 v10, vcc_lo, v64, v10
	s_delay_alu instid0(VALU_DEP_3)
	v_add_co_ci_u32_e32 v11, vcc_lo, v65, v11, vcc_lo
	ds_store_b64 v0, v[10:11] offset:728
	v_cmpx_ne_u32_e32 0, v12
	s_cbranch_execz .LBB6_972
; %bb.971:                              ;   in Loop: Header=BB6_945 Depth=1
	ds_load_b64 v[10:11], v0 offset:584
	s_waitcnt lgkmcnt(0)
	v_add_co_u32 v10, vcc_lo, v10, 1
	v_add_co_ci_u32_e32 v11, vcc_lo, 0, v11, vcc_lo
	ds_store_b64 v0, v[10:11] offset:584
.LBB6_972:                              ;   in Loop: Header=BB6_945 Depth=1
	s_or_b32 exec_lo, exec_lo, s7
	v_add_co_u32 v8, vcc_lo, v8, 1
	v_add_co_ci_u32_e32 v9, vcc_lo, 0, v9, vcc_lo
.LBB6_973:                              ;   in Loop: Header=BB6_945 Depth=1
	s_or_b32 exec_lo, exec_lo, s10
	s_and_saveexec_b32 s7, s2
	s_cbranch_execz .LBB6_995
; %bb.974:                              ;   in Loop: Header=BB6_945 Depth=1
	s_and_saveexec_b32 s10, s3
	s_delay_alu instid0(SALU_CYCLE_1)
	s_xor_b32 s10, exec_lo, s10
	s_cbranch_execz .LBB6_992
; %bb.975:                              ;   in Loop: Header=BB6_945 Depth=1
	s_and_saveexec_b32 s11, s4
	s_cbranch_execz .LBB6_991
; %bb.976:                              ;   in Loop: Header=BB6_945 Depth=1
	s_mov_b32 s23, exec_lo
	s_mov_b32 s12, exec_lo
	v_mbcnt_lo_u32_b32 v10, s23, 0
	s_waitcnt lgkmcnt(0)
	s_waitcnt_vscnt null, 0x0
	buffer_gl1_inv
	buffer_gl0_inv
	v_cmpx_eq_u32_e32 0, v10
	s_cbranch_execz .LBB6_978
; %bb.977:                              ;   in Loop: Header=BB6_945 Depth=1
	s_bcnt1_i32_b32 s23, s23
	s_delay_alu instid0(SALU_CYCLE_1)
	v_mov_b32_e32 v29, s23
	ds_add_u64 v0, v[29:30]
	s_cbranch_execnz .LBB6_2180
.LBB6_978:                              ;   in Loop: Header=BB6_945 Depth=1
	s_or_b32 exec_lo, exec_lo, s12
	s_cbranch_execnz .LBB6_2168
; %bb.979:                              ;   in Loop: Header=BB6_945 Depth=1
	ds_load_b64 v[10:11], v0
	v_add_co_u32 v68, vcc_lo, v68, v87
	v_add_co_ci_u32_e32 v69, vcc_lo, 0, v69, vcc_lo
	s_mov_b32 s12, exec_lo
	s_waitcnt lgkmcnt(0)
	s_delay_alu instid0(VALU_DEP_1)
	v_cmpx_lt_u64_e64 v[10:11], v[68:69]
	s_cbranch_execz .LBB6_990
; %bb.980:                              ;   in Loop: Header=BB6_945 Depth=1
	s_mov_b32 s23, 0
	s_mov_b32 s26, 0
                                        ; implicit-def: $sgpr24
                                        ; implicit-def: $sgpr25
	s_branch .LBB6_982
.LBB6_981:                              ;   in Loop: Header=BB6_982 Depth=2
	s_or_b32 exec_lo, exec_lo, s29
	s_delay_alu instid0(SALU_CYCLE_1) | instskip(NEXT) | instid1(SALU_CYCLE_1)
	s_and_b32 s27, exec_lo, s28
	s_or_b32 s23, s27, s23
	s_and_not1_b32 s24, s24, exec_lo
	s_and_b32 s27, s25, exec_lo
	s_delay_alu instid0(SALU_CYCLE_1)
	s_or_b32 s24, s24, s27
	s_and_not1_b32 exec_lo, exec_lo, s23
	s_cbranch_execz .LBB6_988
.LBB6_982:                              ;   Parent Loop BB6_945 Depth=1
                                        ; =>  This Inner Loop Header: Depth=2
	s_add_i32 s26, s26, 1
                                        ; implicit-def: $sgpr28
	s_delay_alu instid0(SALU_CYCLE_1) | instskip(SKIP_1) | instid1(SALU_CYCLE_1)
	s_cmpk_lg_i32 s26, 0x2710
	s_cselect_b32 s27, -1, 0
	s_and_b32 vcc_lo, exec_lo, s27
	s_cbranch_vccz .LBB6_986
.LBB6_983:                              ;   in Loop: Header=BB6_982 Depth=2
	s_and_not1_b32 s25, s25, exec_lo
	s_and_b32 s29, s28, exec_lo
	s_mov_b32 s28, -1
	s_or_b32 s25, s25, s29
	s_and_saveexec_b32 s29, s27
	s_cbranch_execz .LBB6_981
; %bb.984:                              ;   in Loop: Header=BB6_982 Depth=2
	s_sleep 1
	s_cbranch_execnz .LBB6_2212
; %bb.985:                              ;   in Loop: Header=BB6_982 Depth=2
	ds_load_b64 v[10:11], v0
	s_and_not1_b32 s25, s25, exec_lo
	s_waitcnt lgkmcnt(0)
	v_cmp_ge_u64_e32 vcc_lo, v[10:11], v[68:69]
	s_or_not1_b32 s28, vcc_lo, exec_lo
	s_branch .LBB6_981
.LBB6_986:                              ;   in Loop: Header=BB6_982 Depth=2
	s_cbranch_execnz .LBB6_2220
; %bb.987:                              ;   in Loop: Header=BB6_982 Depth=2
	ds_load_b64 v[10:11], v0
	s_and_not1_b32 s27, s27, exec_lo
	s_mov_b32 s26, 0
	s_mov_b32 s28, -1
	s_waitcnt lgkmcnt(0)
	flat_load_b32 v10, v[10:11] glc
	s_waitcnt vmcnt(0) lgkmcnt(0)
	buffer_gl1_inv
	buffer_gl0_inv
	v_cmp_eq_u32_e32 vcc_lo, 0, v10
	s_and_b32 s29, vcc_lo, exec_lo
	s_delay_alu instid0(SALU_CYCLE_1)
	s_or_b32 s27, s27, s29
	s_branch .LBB6_983
.LBB6_988:                              ;   in Loop: Header=BB6_945 Depth=1
	s_or_b32 exec_lo, exec_lo, s23
	s_and_saveexec_b32 s23, s24
	s_delay_alu instid0(SALU_CYCLE_1)
	s_xor_b32 s23, exec_lo, s23
	s_cbranch_execz .LBB6_990
; %bb.989:                              ;   in Loop: Header=BB6_945 Depth=1
	ds_store_b32 v0, v133
	s_cbranch_execnz .LBB6_2298
.LBB6_990:                              ;   in Loop: Header=BB6_945 Depth=1
	s_or_b32 exec_lo, exec_lo, s12
	;;#ASMSTART
	s_wakeup
	;;#ASMEND
.LBB6_991:                              ;   in Loop: Header=BB6_945 Depth=1
	s_or_b32 exec_lo, exec_lo, s11
.LBB6_992:                              ;   in Loop: Header=BB6_945 Depth=1
	s_and_not1_saveexec_b32 s10, s10
	s_cbranch_execz .LBB6_994
; %bb.993:                              ;   in Loop: Header=BB6_945 Depth=1
	s_waitcnt lgkmcnt(0)
	s_waitcnt_vscnt null, 0x0
	buffer_gl1_inv
	buffer_gl0_inv
	s_barrier
.LBB6_994:                              ;   in Loop: Header=BB6_945 Depth=1
	s_or_b32 exec_lo, exec_lo, s10
.LBB6_995:                              ;   in Loop: Header=BB6_945 Depth=1
	s_delay_alu instid0(SALU_CYCLE_1)
	s_or_b32 exec_lo, exec_lo, s7
	s_cbranch_execnz .LBB6_2101
; %bb.996:                              ;   in Loop: Header=BB6_945 Depth=1
	ds_load_b32 v10, v0
	v_and_b32_e32 v11, 0x4000, v102
	s_delay_alu instid0(VALU_DEP_1) | instskip(SKIP_1) | instid1(SALU_CYCLE_1)
	v_cmp_ne_u32_e32 vcc_lo, 0, v11
	s_and_b32 s10, s20, vcc_lo
	s_and_saveexec_b32 s7, s10
	s_cbranch_execz .LBB6_1018
; %bb.997:                              ;   in Loop: Header=BB6_945 Depth=1
	s_and_saveexec_b32 s10, s3
	s_delay_alu instid0(SALU_CYCLE_1)
	s_xor_b32 s10, exec_lo, s10
	s_cbranch_execz .LBB6_1015
; %bb.998:                              ;   in Loop: Header=BB6_945 Depth=1
	s_and_saveexec_b32 s11, s4
	s_cbranch_execz .LBB6_1014
; %bb.999:                              ;   in Loop: Header=BB6_945 Depth=1
	s_mov_b32 s23, exec_lo
	s_mov_b32 s12, exec_lo
	v_mbcnt_lo_u32_b32 v11, s23, 0
	s_waitcnt lgkmcnt(0)
	s_waitcnt_vscnt null, 0x0
	buffer_gl1_inv
	buffer_gl0_inv
	v_cmpx_eq_u32_e32 0, v11
	s_cbranch_execz .LBB6_1001
; %bb.1000:                             ;   in Loop: Header=BB6_945 Depth=1
	s_bcnt1_i32_b32 s23, s23
	s_delay_alu instid0(SALU_CYCLE_1)
	v_mov_b32_e32 v29, s23
	ds_add_u64 v0, v[29:30]
	s_cbranch_execnz .LBB6_2208
.LBB6_1001:                             ;   in Loop: Header=BB6_945 Depth=1
	s_or_b32 exec_lo, exec_lo, s12
	s_cbranch_execnz .LBB6_2192
; %bb.1002:                             ;   in Loop: Header=BB6_945 Depth=1
	ds_load_b64 v[11:12], v0
	v_add_co_u32 v68, vcc_lo, v68, v87
	v_add_co_ci_u32_e32 v69, vcc_lo, 0, v69, vcc_lo
	s_mov_b32 s12, exec_lo
	s_waitcnt lgkmcnt(0)
	s_delay_alu instid0(VALU_DEP_1)
	v_cmpx_lt_u64_e64 v[11:12], v[68:69]
	s_cbranch_execz .LBB6_1013
; %bb.1003:                             ;   in Loop: Header=BB6_945 Depth=1
	s_mov_b32 s23, 0
	s_mov_b32 s26, 0
                                        ; implicit-def: $sgpr24
                                        ; implicit-def: $sgpr25
	s_branch .LBB6_1005
.LBB6_1004:                             ;   in Loop: Header=BB6_1005 Depth=2
	s_or_b32 exec_lo, exec_lo, s29
	s_delay_alu instid0(SALU_CYCLE_1) | instskip(NEXT) | instid1(SALU_CYCLE_1)
	s_and_b32 s27, exec_lo, s28
	s_or_b32 s23, s27, s23
	s_and_not1_b32 s24, s24, exec_lo
	s_and_b32 s27, s25, exec_lo
	s_delay_alu instid0(SALU_CYCLE_1)
	s_or_b32 s24, s24, s27
	s_and_not1_b32 exec_lo, exec_lo, s23
	s_cbranch_execz .LBB6_1011
.LBB6_1005:                             ;   Parent Loop BB6_945 Depth=1
                                        ; =>  This Inner Loop Header: Depth=2
	s_add_i32 s26, s26, 1
                                        ; implicit-def: $sgpr28
	s_delay_alu instid0(SALU_CYCLE_1) | instskip(SKIP_1) | instid1(SALU_CYCLE_1)
	s_cmpk_lg_i32 s26, 0x2710
	s_cselect_b32 s27, -1, 0
	s_and_b32 vcc_lo, exec_lo, s27
	s_cbranch_vccz .LBB6_1009
.LBB6_1006:                             ;   in Loop: Header=BB6_1005 Depth=2
	s_and_not1_b32 s25, s25, exec_lo
	s_and_b32 s29, s28, exec_lo
	s_mov_b32 s28, -1
	s_or_b32 s25, s25, s29
	s_and_saveexec_b32 s29, s27
	s_cbranch_execz .LBB6_1004
; %bb.1007:                             ;   in Loop: Header=BB6_1005 Depth=2
	s_sleep 1
	s_cbranch_execnz .LBB6_2252
; %bb.1008:                             ;   in Loop: Header=BB6_1005 Depth=2
	ds_load_b64 v[11:12], v0
	s_and_not1_b32 s25, s25, exec_lo
	s_waitcnt lgkmcnt(0)
	v_cmp_ge_u64_e32 vcc_lo, v[11:12], v[68:69]
	s_or_not1_b32 s28, vcc_lo, exec_lo
	s_branch .LBB6_1004
.LBB6_1009:                             ;   in Loop: Header=BB6_1005 Depth=2
	s_cbranch_execnz .LBB6_2266
; %bb.1010:                             ;   in Loop: Header=BB6_1005 Depth=2
	ds_load_b64 v[11:12], v0
	s_and_not1_b32 s27, s27, exec_lo
	s_mov_b32 s26, 0
	s_mov_b32 s28, -1
	s_waitcnt lgkmcnt(0)
	flat_load_b32 v11, v[11:12] glc
	s_waitcnt vmcnt(0) lgkmcnt(0)
	buffer_gl1_inv
	buffer_gl0_inv
	v_cmp_eq_u32_e32 vcc_lo, 0, v11
	s_and_b32 s29, vcc_lo, exec_lo
	s_delay_alu instid0(SALU_CYCLE_1)
	s_or_b32 s27, s27, s29
	s_branch .LBB6_1006
.LBB6_1011:                             ;   in Loop: Header=BB6_945 Depth=1
	s_or_b32 exec_lo, exec_lo, s23
	s_and_saveexec_b32 s23, s24
	s_delay_alu instid0(SALU_CYCLE_1)
	s_xor_b32 s23, exec_lo, s23
	s_cbranch_execz .LBB6_1013
; %bb.1012:                             ;   in Loop: Header=BB6_945 Depth=1
	ds_store_b32 v0, v133
	s_cbranch_execnz .LBB6_2308
.LBB6_1013:                             ;   in Loop: Header=BB6_945 Depth=1
	s_or_b32 exec_lo, exec_lo, s12
	;;#ASMSTART
	s_wakeup
	;;#ASMEND
.LBB6_1014:                             ;   in Loop: Header=BB6_945 Depth=1
	s_or_b32 exec_lo, exec_lo, s11
.LBB6_1015:                             ;   in Loop: Header=BB6_945 Depth=1
	s_and_not1_saveexec_b32 s10, s10
	s_cbranch_execz .LBB6_1017
; %bb.1016:                             ;   in Loop: Header=BB6_945 Depth=1
	s_waitcnt lgkmcnt(0)
	s_waitcnt_vscnt null, 0x0
	buffer_gl1_inv
	buffer_gl0_inv
	s_barrier
.LBB6_1017:                             ;   in Loop: Header=BB6_945 Depth=1
	s_or_b32 exec_lo, exec_lo, s10
.LBB6_1018:                             ;   in Loop: Header=BB6_945 Depth=1
	s_delay_alu instid0(SALU_CYCLE_1)
	s_or_b32 exec_lo, exec_lo, s7
	s_cbranch_execnz .LBB6_2134
; %bb.1019:                             ;   in Loop: Header=BB6_945 Depth=1
	ds_load_b64 v[11:12], v0
	v_min_u32_e32 v134, v134, v84
	s_waitcnt lgkmcnt(0)
	v_cmp_eq_u64_e32 vcc_lo, 0, v[11:12]
	s_or_b32 s7, vcc_lo, vcc_lo
	s_delay_alu instid0(SALU_CYCLE_1)
	s_and_b32 vcc_lo, exec_lo, s7
	s_mov_b32 s7, 0
	s_cbranch_vccnz .LBB6_1738
; %bb.1020:                             ;   in Loop: Header=BB6_945 Depth=1
	s_cbranch_execnz .LBB6_2160
; %bb.1021:                             ;   in Loop: Header=BB6_945 Depth=1
	ds_load_b64 v[11:12], v0
	s_mov_b32 s7, -1
	s_waitcnt lgkmcnt(0)
	v_readfirstlane_b32 s23, v11
	s_and_saveexec_b32 s10, s5
	s_cbranch_execz .LBB6_1023
; %bb.1022:                             ;   in Loop: Header=BB6_945 Depth=1
	ds_load_b32 v11, v0 offset:720
	s_waitcnt lgkmcnt(0)
	v_and_b32_e32 v11, 15, v11
	s_delay_alu instid0(VALU_DEP_1)
	v_cmp_eq_u32_e32 vcc_lo, 0, v11
	s_or_not1_b32 s7, vcc_lo, exec_lo
.LBB6_1023:                             ;   in Loop: Header=BB6_945 Depth=1
	s_or_b32 exec_lo, exec_lo, s10
	s_and_saveexec_b32 s10, s6
	s_cbranch_execz .LBB6_1025
; %bb.1024:                             ;   in Loop: Header=BB6_945 Depth=1
	ds_load_b32 v11, v0 offset:784
	s_waitcnt lgkmcnt(0)
	v_and_b32_e32 v11, 15, v11
	s_delay_alu instid0(VALU_DEP_1) | instskip(SKIP_3) | instid1(SALU_CYCLE_1)
	v_cmp_eq_u32_e32 vcc_lo, 0, v11
	s_and_b32 s11, s7, vcc_lo
	s_and_not1_b32 s7, s7, exec_lo
	s_and_b32 s11, s11, exec_lo
	s_or_b32 s7, s7, s11
.LBB6_1025:                             ;   in Loop: Header=BB6_945 Depth=1
	s_or_b32 exec_lo, exec_lo, s10
	v_cmp_eq_u32_e32 vcc_lo, 0, v10
	s_xor_b32 s7, s7, -1
	v_mov_b32_e32 v16, 0
	v_cndmask_b32_e64 v11, 0, 1, s7
	;;#ASMSTART
	;;#ASMEND
	v_cndmask_b32_e32 v135, 0, v134, vcc_lo
	s_delay_alu instid0(VALU_DEP_2) | instskip(SKIP_1) | instid1(VALU_DEP_2)
	v_cmp_ne_u32_e32 vcc_lo, 0, v11
	s_mov_b32 s7, -1
	v_lshlrev_b32_e32 v144, 1, v135
	s_cbranch_vccz .LBB6_1027
; %bb.1026:                             ;   in Loop: Header=BB6_945 Depth=1
	v_mov_b32_e32 v17, v0
	v_mov_b32_e32 v10, v100
	s_branch .LBB6_1522
.LBB6_1027:                             ;   in Loop: Header=BB6_945 Depth=1
	v_lshrrev_b32_e32 v146, 10, v135
	s_mov_b32 s12, exec_lo
	s_delay_alu instid0(VALU_DEP_1) | instskip(NEXT) | instid1(VALU_DEP_1)
	v_sub_nc_u32_e32 v145, v146, v100
	v_cmpx_lt_i32_e32 0, v145
	s_cbranch_execz .LBB6_1416
; %bb.1028:                             ;   in Loop: Header=BB6_945 Depth=1
	s_cbranch_execnz .LBB6_2260
; %bb.1029:                             ;   in Loop: Header=BB6_945 Depth=1
	ds_load_b128 v[10:13], v0
	ds_load_b64 v[14:15], v0
	s_bitcmp1_b32 s23, 0
	s_mov_b32 s24, 0
	s_cselect_b32 s25, -1, 0
	s_waitcnt lgkmcnt(1)
	v_add_co_u32 v85, vcc_lo, v10, v115
	v_add_co_ci_u32_e32 v86, vcc_lo, v11, v118, vcc_lo
	v_add_co_u32 v96, vcc_lo, v12, v115
	v_add_co_ci_u32_e32 v97, vcc_lo, v13, v118, vcc_lo
	s_waitcnt lgkmcnt(0)
	v_add_co_u32 v98, vcc_lo, v14, v115
	v_add_co_ci_u32_e32 v99, vcc_lo, v15, v118, vcc_lo
	s_branch .LBB6_1033
.LBB6_1030:                             ;   in Loop: Header=BB6_1033 Depth=2
	s_or_b32 exec_lo, exec_lo, s26
	s_delay_alu instid0(VALU_DEP_1)
	v_mov_b32_e32 v150, v148
.LBB6_1031:                             ;   in Loop: Header=BB6_1033 Depth=2
	s_or_b32 exec_lo, exec_lo, s11
	s_delay_alu instid0(VALU_DEP_1)
	v_mov_b32_e32 v13, v150
.LBB6_1032:                             ;   in Loop: Header=BB6_1033 Depth=2
	v_lshlrev_b32_e32 v17, 16, v22
	v_and_b32_e32 v19, 0xffff, v19
	v_lshlrev_b32_e32 v18, 16, v18
	v_and_b32_e32 v22, 0xffff, v35
	;; [unrolled: 2-line block ×3, first 2 shown]
	v_and_b32_e32 v27, 0xffff, v27
	v_lshlrev_b32_e32 v10, 16, v10
	v_or_b32_e32 v22, v18, v22
	v_or3_b32 v18, v17, v19, 0
	v_or_b32_e32 v19, v20, v23
	v_lshlrev_b32_e32 v20, 16, v21
	v_and_b32_e32 v21, 0xffff, v24
	v_lshlrev_b32_e32 v23, 16, v32
	v_lshlrev_b32_e32 v24, 16, v26
	v_and_b32_e32 v26, 0xffff, v51
	v_or3_b32 v17, 0, 0, v22
	v_or3_b32 v20, v20, v21, 0
	v_or3_b32 v22, v23, v27, 0
	v_lshlrev_b32_e32 v23, 16, v28
	v_or_b32_e32 v21, v24, v26
	v_and_b32_e32 v24, 0xffff, v33
	v_lshlrev_b32_e32 v26, 16, v29
	v_and_b32_e32 v27, 0xffff, v34
	v_lshlrev_b32_e32 v28, 16, v36
	v_and_b32_e32 v29, 0xffff, v147
	v_or_b32_e32 v23, v23, v24
	v_and_b32_e32 v32, 0xffff, v49
	v_or3_b32 v24, v26, v27, 0
	v_lshlrev_b32_e32 v26, 16, v48
	v_and_b32_e32 v27, 0xffff, v37
	v_or_b32_e32 v28, v28, v29
	v_lshlrev_b32_e32 v29, 16, v50
	v_and_b32_e32 v25, 0xffff, v25
	v_lshlrev_b32_e32 v12, 16, v12
	v_and_b32_e32 v15, 0xffff, v15
	;; [unrolled: 2-line block ×3, first 2 shown]
	v_or3_b32 v27, v26, v27, 0
	v_or3_b32 v26, 0, 0, v28
	v_or_b32_e32 v28, v29, v32
	v_lshlrev_b32_e32 v14, 16, v14
	v_and_b32_e32 v11, 0xffff, v11
	v_or_b32_e32 v10, v10, v25
	v_lshlrev_b32_e32 v13, 16, v13
	v_and_b32_e32 v16, 0xffff, v16
	v_or_b32_e32 v12, v12, v15
	v_add_co_u32 v85, vcc_lo, v85, v116
	v_or3_b32 v29, v33, v34, 0
	v_or3_b32 v28, 0, 0, v28
	v_sub_nc_u32_e32 v145, v145, v87
	v_or3_b32 v21, 0, 0, v21
	v_or3_b32 v23, 0, 0, v23
	v_add_co_ci_u32_e32 v86, vcc_lo, v86, v117, vcc_lo
	v_or3_b32 v19, 0, 0, v19
	v_add_co_u32 v96, vcc_lo, v96, v116
	v_or3_b32 v11, v14, v11, 0
	v_or3_b32 v10, 0, 0, v10
	;; [unrolled: 1-line block ×4, first 2 shown]
	v_add_co_ci_u32_e32 v97, vcc_lo, v97, v117, vcc_lo
	s_clause 0x3
	global_store_b128 v[98:99], v[26:29], off glc slc dlc
	global_store_b128 v[98:99], v[21:24], off offset:512 glc slc dlc
	global_store_b128 v[98:99], v[17:20], off offset:1024 glc slc dlc
	;; [unrolled: 1-line block ×3, first 2 shown]
	v_cmp_gt_i32_e32 vcc_lo, 1, v145
	v_add_co_u32 v98, s7, v98, v116
	s_delay_alu instid0(VALU_DEP_1) | instskip(SKIP_1) | instid1(SALU_CYCLE_1)
	v_add_co_ci_u32_e64 v99, s7, v99, v117, s7
	s_or_b32 s24, vcc_lo, s24
	s_and_not1_b32 exec_lo, exec_lo, s24
	s_cbranch_execz .LBB6_1415
.LBB6_1033:                             ;   Parent Loop BB6_945 Depth=1
                                        ; =>  This Inner Loop Header: Depth=2
	global_load_b128 v[48:51], v[85:86], off slc dlc
	global_load_b128 v[36:39], v[96:97], off slc dlc
	s_clause 0x2
	global_load_b128 v[32:35], v[85:86], off offset:512 slc dlc
	global_load_b128 v[22:25], v[85:86], off offset:1024 slc dlc
	global_load_b128 v[14:17], v[85:86], off offset:1536 slc dlc
	s_clause 0x2
	global_load_b128 v[26:29], v[96:97], off offset:512 slc dlc
	global_load_b128 v[18:21], v[96:97], off offset:1024 slc dlc
	;; [unrolled: 1-line block ×3, first 2 shown]
	s_mov_b32 s11, -1
	s_and_b32 vcc_lo, exec_lo, s25
	s_waitcnt vmcnt(7)
	v_and_b32_e32 v147, 0x7fff, v48
	s_waitcnt vmcnt(6)
	v_and_b32_e32 v148, 0x7fff, v36
	v_perm_b32 v149, v36, v48, 0x5040100
	s_delay_alu instid0(VALU_DEP_3) | instskip(NEXT) | instid1(VALU_DEP_3)
	v_cmp_lt_u16_e64 s7, 0x7c00, v147
	v_cmp_gt_u16_e64 s10, 0x7c01, v148
                                        ; implicit-def: $vgpr147
	s_delay_alu instid0(VALU_DEP_1) | instskip(NEXT) | instid1(SALU_CYCLE_1)
	s_and_b32 s26, s7, s10
	s_xor_b32 s26, s26, -1
	s_cbranch_vccz .LBB6_1039
; %bb.1034:                             ;   in Loop: Header=BB6_1033 Depth=2
	v_mov_b32_e32 v147, v36
	s_and_saveexec_b32 s27, s26
	s_cbranch_execz .LBB6_1038
; %bb.1035:                             ;   in Loop: Header=BB6_1033 Depth=2
	v_mov_b32_e32 v147, v48
	s_or_b32 s11, s7, s10
	s_delay_alu instid0(SALU_CYCLE_1)
	s_and_saveexec_b32 s28, s11
; %bb.1036:                             ;   in Loop: Header=BB6_1033 Depth=2
	v_lshrrev_b32_e32 v147, 16, v149
	v_cmp_lt_u16_e64 vcc_lo, 0x7c00, v148
	s_delay_alu instid0(VALU_DEP_2) | instskip(NEXT) | instid1(VALU_DEP_1)
	v_cmp_gt_f16_e64 s11, v149, v147
	v_cndmask_b32_e64 v147, v147, v149, s11
	s_delay_alu instid0(VALU_DEP_3)
	s_and_b32 s11, s7, vcc_lo
	s_delay_alu instid0(VALU_DEP_1) | instid1(SALU_CYCLE_1)
	v_cndmask_b32_e64 v147, v147, 0x7fff, s11
; %bb.1037:                             ;   in Loop: Header=BB6_1033 Depth=2
	s_or_b32 exec_lo, exec_lo, s28
.LBB6_1038:                             ;   in Loop: Header=BB6_1033 Depth=2
	s_delay_alu instid0(SALU_CYCLE_1)
	s_or_b32 exec_lo, exec_lo, s27
	s_mov_b32 s11, 0
.LBB6_1039:                             ;   in Loop: Header=BB6_1033 Depth=2
	s_delay_alu instid0(SALU_CYCLE_1)
	s_and_not1_b32 vcc_lo, exec_lo, s11
	s_cbranch_vccnz .LBB6_1045
; %bb.1040:                             ;   in Loop: Header=BB6_1033 Depth=2
	v_mov_b32_e32 v147, v36
	s_and_saveexec_b32 s11, s26
	s_cbranch_execz .LBB6_1044
; %bb.1041:                             ;   in Loop: Header=BB6_1033 Depth=2
	v_mov_b32_e32 v147, v48
	s_or_b32 s10, s7, s10
	s_delay_alu instid0(SALU_CYCLE_1)
	s_and_saveexec_b32 s26, s10
; %bb.1042:                             ;   in Loop: Header=BB6_1033 Depth=2
	v_lshrrev_b32_e32 v147, 16, v149
	v_cmp_lt_u16_e64 vcc_lo, 0x7c00, v148
	s_delay_alu instid0(VALU_DEP_2) | instskip(NEXT) | instid1(VALU_DEP_2)
	v_cmp_gt_f16_e64 s10, v149, v147
	s_and_b32 s7, s7, vcc_lo
	s_delay_alu instid0(VALU_DEP_1) | instskip(NEXT) | instid1(VALU_DEP_1)
	v_cndmask_b32_e64 v147, v149, v147, s10
	v_cndmask_b32_e64 v147, v147, 0x7fff, s7
; %bb.1043:                             ;   in Loop: Header=BB6_1033 Depth=2
	s_or_b32 exec_lo, exec_lo, s26
.LBB6_1044:                             ;   in Loop: Header=BB6_1033 Depth=2
	s_delay_alu instid0(SALU_CYCLE_1)
	s_or_b32 exec_lo, exec_lo, s11
.LBB6_1045:                             ;   in Loop: Header=BB6_1033 Depth=2
	v_mov_b32_e32 v151, v48
	v_mov_b32_e32 v160, v36
	;; [unrolled: 1-line block ×4, first 2 shown]
	s_mov_b32 s11, -1
	v_lshrrev_b32_e32 v148, 16, v151
	v_lshrrev_b32_e32 v150, 16, v160
	s_and_b32 vcc_lo, exec_lo, s25
	s_delay_alu instid0(VALU_DEP_2) | instskip(NEXT) | instid1(VALU_DEP_2)
	v_and_b32_e32 v36, 0x7fff, v148
	v_and_b32_e32 v149, 0x7fff, v150
	v_perm_b32 v37, v160, v151, 0x7060302
	s_delay_alu instid0(VALU_DEP_3) | instskip(NEXT) | instid1(VALU_DEP_3)
	v_cmp_lt_u16_e64 s7, 0x7c00, v36
	v_cmp_gt_u16_e64 s10, 0x7c01, v149
                                        ; implicit-def: $vgpr36
	s_delay_alu instid0(VALU_DEP_1) | instskip(NEXT) | instid1(SALU_CYCLE_1)
	s_and_b32 s26, s7, s10
	s_xor_b32 s26, s26, -1
	s_cbranch_vccz .LBB6_1051
; %bb.1046:                             ;   in Loop: Header=BB6_1033 Depth=2
	v_mov_b32_e32 v36, v150
	s_and_saveexec_b32 s27, s26
	s_cbranch_execz .LBB6_1050
; %bb.1047:                             ;   in Loop: Header=BB6_1033 Depth=2
	v_mov_b32_e32 v36, v148
	s_or_b32 s11, s7, s10
	s_delay_alu instid0(SALU_CYCLE_1)
	s_and_saveexec_b32 s28, s11
; %bb.1048:                             ;   in Loop: Header=BB6_1033 Depth=2
	v_lshrrev_b32_e32 v36, 16, v37
	v_cmp_lt_u16_e64 vcc_lo, 0x7c00, v149
	s_delay_alu instid0(VALU_DEP_2) | instskip(NEXT) | instid1(VALU_DEP_1)
	v_cmp_gt_f16_e64 s11, v37, v36
	v_cndmask_b32_e64 v36, v36, v37, s11
	s_delay_alu instid0(VALU_DEP_3)
	s_and_b32 s11, s7, vcc_lo
	s_delay_alu instid0(VALU_DEP_1) | instid1(SALU_CYCLE_1)
	v_cndmask_b32_e64 v36, v36, 0x7fff, s11
; %bb.1049:                             ;   in Loop: Header=BB6_1033 Depth=2
	s_or_b32 exec_lo, exec_lo, s28
.LBB6_1050:                             ;   in Loop: Header=BB6_1033 Depth=2
	s_delay_alu instid0(SALU_CYCLE_1)
	s_or_b32 exec_lo, exec_lo, s27
	s_mov_b32 s11, 0
.LBB6_1051:                             ;   in Loop: Header=BB6_1033 Depth=2
	s_delay_alu instid0(SALU_CYCLE_1)
	s_and_not1_b32 vcc_lo, exec_lo, s11
	s_cbranch_vccnz .LBB6_1057
; %bb.1052:                             ;   in Loop: Header=BB6_1033 Depth=2
	s_and_saveexec_b32 s11, s26
	s_cbranch_execz .LBB6_1056
; %bb.1053:                             ;   in Loop: Header=BB6_1033 Depth=2
	s_or_b32 s10, s7, s10
	s_delay_alu instid0(SALU_CYCLE_1)
	s_and_saveexec_b32 s26, s10
; %bb.1054:                             ;   in Loop: Header=BB6_1033 Depth=2
	v_lshrrev_b32_e32 v36, 16, v37
	v_cmp_lt_u16_e64 vcc_lo, 0x7c00, v149
	s_delay_alu instid0(VALU_DEP_2) | instskip(NEXT) | instid1(VALU_DEP_2)
	v_cmp_gt_f16_e64 s10, v37, v36
	s_and_b32 s7, s7, vcc_lo
	s_delay_alu instid0(VALU_DEP_1) | instskip(NEXT) | instid1(VALU_DEP_1)
	v_cndmask_b32_e64 v36, v37, v36, s10
	v_cndmask_b32_e64 v148, v36, 0x7fff, s7
; %bb.1055:                             ;   in Loop: Header=BB6_1033 Depth=2
	s_or_b32 exec_lo, exec_lo, s26
	s_delay_alu instid0(VALU_DEP_1)
	v_mov_b32_e32 v150, v148
.LBB6_1056:                             ;   in Loop: Header=BB6_1033 Depth=2
	s_or_b32 exec_lo, exec_lo, s11
	s_delay_alu instid0(VALU_DEP_1)
	v_mov_b32_e32 v36, v150
.LBB6_1057:                             ;   in Loop: Header=BB6_1033 Depth=2
	v_and_b32_e32 v37, 0x7fff, v48
	v_and_b32_e32 v148, 0x7fff, v49
	v_perm_b32 v149, v49, v48, 0x5040100
	s_mov_b32 s11, -1
	s_and_b32 vcc_lo, exec_lo, s25
	v_cmp_lt_u16_e64 s7, 0x7c00, v37
	v_cmp_gt_u16_e64 s10, 0x7c01, v148
                                        ; implicit-def: $vgpr37
	s_delay_alu instid0(VALU_DEP_1) | instskip(NEXT) | instid1(SALU_CYCLE_1)
	s_and_b32 s26, s7, s10
	s_xor_b32 s26, s26, -1
	s_cbranch_vccz .LBB6_1063
; %bb.1058:                             ;   in Loop: Header=BB6_1033 Depth=2
	v_mov_b32_e32 v37, v49
	s_and_saveexec_b32 s27, s26
	s_cbranch_execz .LBB6_1062
; %bb.1059:                             ;   in Loop: Header=BB6_1033 Depth=2
	v_mov_b32_e32 v37, v48
	s_or_b32 s11, s7, s10
	s_delay_alu instid0(SALU_CYCLE_1)
	s_and_saveexec_b32 s28, s11
; %bb.1060:                             ;   in Loop: Header=BB6_1033 Depth=2
	v_lshrrev_b32_e32 v37, 16, v149
	v_cmp_lt_u16_e64 vcc_lo, 0x7c00, v148
	s_delay_alu instid0(VALU_DEP_2) | instskip(NEXT) | instid1(VALU_DEP_1)
	v_cmp_gt_f16_e64 s11, v149, v37
	v_cndmask_b32_e64 v37, v37, v149, s11
	s_delay_alu instid0(VALU_DEP_3)
	s_and_b32 s11, s7, vcc_lo
	s_delay_alu instid0(VALU_DEP_1) | instid1(SALU_CYCLE_1)
	v_cndmask_b32_e64 v37, v37, 0x7fff, s11
; %bb.1061:                             ;   in Loop: Header=BB6_1033 Depth=2
	s_or_b32 exec_lo, exec_lo, s28
.LBB6_1062:                             ;   in Loop: Header=BB6_1033 Depth=2
	s_delay_alu instid0(SALU_CYCLE_1)
	s_or_b32 exec_lo, exec_lo, s27
	s_mov_b32 s11, 0
.LBB6_1063:                             ;   in Loop: Header=BB6_1033 Depth=2
	s_delay_alu instid0(SALU_CYCLE_1)
	s_and_not1_b32 vcc_lo, exec_lo, s11
	s_cbranch_vccnz .LBB6_1069
; %bb.1064:                             ;   in Loop: Header=BB6_1033 Depth=2
	v_mov_b32_e32 v37, v49
	s_and_saveexec_b32 s11, s26
	s_cbranch_execz .LBB6_1068
; %bb.1065:                             ;   in Loop: Header=BB6_1033 Depth=2
	v_mov_b32_e32 v37, v48
	s_or_b32 s10, s7, s10
	s_delay_alu instid0(SALU_CYCLE_1)
	s_and_saveexec_b32 s26, s10
; %bb.1066:                             ;   in Loop: Header=BB6_1033 Depth=2
	v_lshrrev_b32_e32 v37, 16, v149
	v_cmp_lt_u16_e64 vcc_lo, 0x7c00, v148
	s_delay_alu instid0(VALU_DEP_2) | instskip(NEXT) | instid1(VALU_DEP_2)
	v_cmp_gt_f16_e64 s10, v149, v37
	s_and_b32 s7, s7, vcc_lo
	s_delay_alu instid0(VALU_DEP_1) | instskip(NEXT) | instid1(VALU_DEP_1)
	v_cndmask_b32_e64 v37, v149, v37, s10
	v_cndmask_b32_e64 v37, v37, 0x7fff, s7
; %bb.1067:                             ;   in Loop: Header=BB6_1033 Depth=2
	s_or_b32 exec_lo, exec_lo, s26
.LBB6_1068:                             ;   in Loop: Header=BB6_1033 Depth=2
	s_delay_alu instid0(SALU_CYCLE_1)
	s_or_b32 exec_lo, exec_lo, s11
.LBB6_1069:                             ;   in Loop: Header=BB6_1033 Depth=2
	v_lshrrev_b32_e32 v148, 16, v48
	v_lshrrev_b32_e32 v150, 16, v49
	v_perm_b32 v49, v49, v48, 0x7060302
	s_mov_b32 s11, -1
	s_and_b32 vcc_lo, exec_lo, s25
	v_and_b32_e32 v151, 0x7fff, v148
	v_and_b32_e32 v149, 0x7fff, v150
                                        ; implicit-def: $vgpr48
	s_delay_alu instid0(VALU_DEP_2) | instskip(NEXT) | instid1(VALU_DEP_2)
	v_cmp_lt_u16_e64 s7, 0x7c00, v151
	v_cmp_gt_u16_e64 s10, 0x7c01, v149
	s_delay_alu instid0(VALU_DEP_1) | instskip(NEXT) | instid1(SALU_CYCLE_1)
	s_and_b32 s26, s7, s10
	s_xor_b32 s26, s26, -1
	s_cbranch_vccz .LBB6_1075
; %bb.1070:                             ;   in Loop: Header=BB6_1033 Depth=2
	v_mov_b32_e32 v48, v150
	s_and_saveexec_b32 s27, s26
	s_cbranch_execz .LBB6_1074
; %bb.1071:                             ;   in Loop: Header=BB6_1033 Depth=2
	v_mov_b32_e32 v48, v148
	s_or_b32 s11, s7, s10
	s_delay_alu instid0(SALU_CYCLE_1)
	s_and_saveexec_b32 s28, s11
; %bb.1072:                             ;   in Loop: Header=BB6_1033 Depth=2
	v_lshrrev_b32_e32 v48, 16, v49
	v_cmp_lt_u16_e64 vcc_lo, 0x7c00, v149
	s_delay_alu instid0(VALU_DEP_2) | instskip(NEXT) | instid1(VALU_DEP_1)
	v_cmp_gt_f16_e64 s11, v49, v48
	v_cndmask_b32_e64 v48, v48, v49, s11
	s_delay_alu instid0(VALU_DEP_3)
	s_and_b32 s11, s7, vcc_lo
	s_delay_alu instid0(VALU_DEP_1) | instid1(SALU_CYCLE_1)
	v_cndmask_b32_e64 v48, v48, 0x7fff, s11
; %bb.1073:                             ;   in Loop: Header=BB6_1033 Depth=2
	s_or_b32 exec_lo, exec_lo, s28
.LBB6_1074:                             ;   in Loop: Header=BB6_1033 Depth=2
	s_delay_alu instid0(SALU_CYCLE_1)
	s_or_b32 exec_lo, exec_lo, s27
	s_mov_b32 s11, 0
.LBB6_1075:                             ;   in Loop: Header=BB6_1033 Depth=2
	s_delay_alu instid0(SALU_CYCLE_1)
	s_and_not1_b32 vcc_lo, exec_lo, s11
	s_cbranch_vccnz .LBB6_1081
; %bb.1076:                             ;   in Loop: Header=BB6_1033 Depth=2
	s_and_saveexec_b32 s11, s26
	s_cbranch_execz .LBB6_1080
; %bb.1077:                             ;   in Loop: Header=BB6_1033 Depth=2
	s_or_b32 s10, s7, s10
	s_delay_alu instid0(SALU_CYCLE_1)
	s_and_saveexec_b32 s26, s10
; %bb.1078:                             ;   in Loop: Header=BB6_1033 Depth=2
	v_lshrrev_b32_e32 v48, 16, v49
	v_cmp_lt_u16_e64 vcc_lo, 0x7c00, v149
	s_delay_alu instid0(VALU_DEP_2) | instskip(NEXT) | instid1(VALU_DEP_2)
	v_cmp_gt_f16_e64 s10, v49, v48
	s_and_b32 s7, s7, vcc_lo
	s_delay_alu instid0(VALU_DEP_1) | instskip(NEXT) | instid1(VALU_DEP_1)
	v_cndmask_b32_e64 v48, v49, v48, s10
	v_cndmask_b32_e64 v148, v48, 0x7fff, s7
; %bb.1079:                             ;   in Loop: Header=BB6_1033 Depth=2
	s_or_b32 exec_lo, exec_lo, s26
	s_delay_alu instid0(VALU_DEP_1)
	v_mov_b32_e32 v150, v148
.LBB6_1080:                             ;   in Loop: Header=BB6_1033 Depth=2
	s_or_b32 exec_lo, exec_lo, s11
	s_delay_alu instid0(VALU_DEP_1)
	v_mov_b32_e32 v48, v150
.LBB6_1081:                             ;   in Loop: Header=BB6_1033 Depth=2
	v_and_b32_e32 v49, 0x7fff, v50
	v_and_b32_e32 v148, 0x7fff, v38
	v_perm_b32 v149, v38, v50, 0x5040100
	s_mov_b32 s11, -1
	s_and_b32 vcc_lo, exec_lo, s25
	v_cmp_lt_u16_e64 s7, 0x7c00, v49
	v_cmp_gt_u16_e64 s10, 0x7c01, v148
                                        ; implicit-def: $vgpr49
	s_delay_alu instid0(VALU_DEP_1) | instskip(NEXT) | instid1(SALU_CYCLE_1)
	s_and_b32 s26, s7, s10
	s_xor_b32 s26, s26, -1
	s_cbranch_vccz .LBB6_1087
; %bb.1082:                             ;   in Loop: Header=BB6_1033 Depth=2
	v_mov_b32_e32 v49, v38
	s_and_saveexec_b32 s27, s26
	s_cbranch_execz .LBB6_1086
; %bb.1083:                             ;   in Loop: Header=BB6_1033 Depth=2
	v_mov_b32_e32 v49, v50
	s_or_b32 s11, s7, s10
	s_delay_alu instid0(SALU_CYCLE_1)
	s_and_saveexec_b32 s28, s11
; %bb.1084:                             ;   in Loop: Header=BB6_1033 Depth=2
	v_lshrrev_b32_e32 v49, 16, v149
	v_cmp_lt_u16_e64 vcc_lo, 0x7c00, v148
	s_delay_alu instid0(VALU_DEP_2) | instskip(NEXT) | instid1(VALU_DEP_1)
	v_cmp_gt_f16_e64 s11, v149, v49
	v_cndmask_b32_e64 v49, v49, v149, s11
	s_delay_alu instid0(VALU_DEP_3)
	s_and_b32 s11, s7, vcc_lo
	s_delay_alu instid0(VALU_DEP_1) | instid1(SALU_CYCLE_1)
	v_cndmask_b32_e64 v49, v49, 0x7fff, s11
; %bb.1085:                             ;   in Loop: Header=BB6_1033 Depth=2
	s_or_b32 exec_lo, exec_lo, s28
.LBB6_1086:                             ;   in Loop: Header=BB6_1033 Depth=2
	s_delay_alu instid0(SALU_CYCLE_1)
	s_or_b32 exec_lo, exec_lo, s27
	s_mov_b32 s11, 0
.LBB6_1087:                             ;   in Loop: Header=BB6_1033 Depth=2
	s_delay_alu instid0(SALU_CYCLE_1)
	s_and_not1_b32 vcc_lo, exec_lo, s11
	s_cbranch_vccnz .LBB6_1093
; %bb.1088:                             ;   in Loop: Header=BB6_1033 Depth=2
	v_mov_b32_e32 v49, v38
	s_and_saveexec_b32 s11, s26
	s_cbranch_execz .LBB6_1092
; %bb.1089:                             ;   in Loop: Header=BB6_1033 Depth=2
	v_mov_b32_e32 v49, v50
	s_or_b32 s10, s7, s10
	s_delay_alu instid0(SALU_CYCLE_1)
	s_and_saveexec_b32 s26, s10
; %bb.1090:                             ;   in Loop: Header=BB6_1033 Depth=2
	v_lshrrev_b32_e32 v49, 16, v149
	v_cmp_lt_u16_e64 vcc_lo, 0x7c00, v148
	s_delay_alu instid0(VALU_DEP_2) | instskip(NEXT) | instid1(VALU_DEP_2)
	v_cmp_gt_f16_e64 s10, v149, v49
	s_and_b32 s7, s7, vcc_lo
	s_delay_alu instid0(VALU_DEP_1) | instskip(NEXT) | instid1(VALU_DEP_1)
	v_cndmask_b32_e64 v49, v149, v49, s10
	v_cndmask_b32_e64 v49, v49, 0x7fff, s7
; %bb.1091:                             ;   in Loop: Header=BB6_1033 Depth=2
	s_or_b32 exec_lo, exec_lo, s26
.LBB6_1092:                             ;   in Loop: Header=BB6_1033 Depth=2
	s_delay_alu instid0(SALU_CYCLE_1)
	s_or_b32 exec_lo, exec_lo, s11
.LBB6_1093:                             ;   in Loop: Header=BB6_1033 Depth=2
	v_mov_b32_e32 v151, v50
	v_lshrrev_b32_e32 v150, 16, v38
	s_mov_b32 s11, -1
	s_and_b32 vcc_lo, exec_lo, s25
	s_delay_alu instid0(VALU_DEP_2) | instskip(NEXT) | instid1(VALU_DEP_2)
	v_lshrrev_b32_e32 v148, 16, v151
	v_and_b32_e32 v149, 0x7fff, v150
	s_delay_alu instid0(VALU_DEP_2) | instskip(NEXT) | instid1(VALU_DEP_2)
	v_and_b32_e32 v50, 0x7fff, v148
	v_cmp_gt_u16_e64 s10, 0x7c01, v149
	v_perm_b32 v38, v38, v151, 0x7060302
	s_delay_alu instid0(VALU_DEP_3) | instskip(NEXT) | instid1(VALU_DEP_1)
	v_cmp_lt_u16_e64 s7, 0x7c00, v50
                                        ; implicit-def: $vgpr50
	s_and_b32 s26, s7, s10
	s_delay_alu instid0(SALU_CYCLE_1)
	s_xor_b32 s26, s26, -1
	s_cbranch_vccz .LBB6_1099
; %bb.1094:                             ;   in Loop: Header=BB6_1033 Depth=2
	v_mov_b32_e32 v50, v150
	s_and_saveexec_b32 s27, s26
	s_cbranch_execz .LBB6_1098
; %bb.1095:                             ;   in Loop: Header=BB6_1033 Depth=2
	v_mov_b32_e32 v50, v148
	s_or_b32 s11, s7, s10
	s_delay_alu instid0(SALU_CYCLE_1)
	s_and_saveexec_b32 s28, s11
; %bb.1096:                             ;   in Loop: Header=BB6_1033 Depth=2
	v_lshrrev_b32_e32 v50, 16, v38
	v_cmp_lt_u16_e64 vcc_lo, 0x7c00, v149
	s_delay_alu instid0(VALU_DEP_2) | instskip(NEXT) | instid1(VALU_DEP_1)
	v_cmp_gt_f16_e64 s11, v38, v50
	v_cndmask_b32_e64 v50, v50, v38, s11
	s_delay_alu instid0(VALU_DEP_3)
	s_and_b32 s11, s7, vcc_lo
	s_delay_alu instid0(VALU_DEP_1) | instid1(SALU_CYCLE_1)
	v_cndmask_b32_e64 v50, v50, 0x7fff, s11
; %bb.1097:                             ;   in Loop: Header=BB6_1033 Depth=2
	s_or_b32 exec_lo, exec_lo, s28
.LBB6_1098:                             ;   in Loop: Header=BB6_1033 Depth=2
	s_delay_alu instid0(SALU_CYCLE_1)
	s_or_b32 exec_lo, exec_lo, s27
	s_mov_b32 s11, 0
.LBB6_1099:                             ;   in Loop: Header=BB6_1033 Depth=2
	s_delay_alu instid0(SALU_CYCLE_1)
	s_and_not1_b32 vcc_lo, exec_lo, s11
	s_cbranch_vccnz .LBB6_1105
; %bb.1100:                             ;   in Loop: Header=BB6_1033 Depth=2
	s_and_saveexec_b32 s11, s26
	s_cbranch_execz .LBB6_1104
; %bb.1101:                             ;   in Loop: Header=BB6_1033 Depth=2
	s_or_b32 s10, s7, s10
	s_delay_alu instid0(SALU_CYCLE_1)
	s_and_saveexec_b32 s26, s10
; %bb.1102:                             ;   in Loop: Header=BB6_1033 Depth=2
	v_lshrrev_b32_e32 v50, 16, v38
	v_cmp_lt_u16_e64 vcc_lo, 0x7c00, v149
	s_delay_alu instid0(VALU_DEP_2) | instskip(NEXT) | instid1(VALU_DEP_2)
	v_cmp_gt_f16_e64 s10, v38, v50
	s_and_b32 s7, s7, vcc_lo
	s_delay_alu instid0(VALU_DEP_1) | instskip(NEXT) | instid1(VALU_DEP_1)
	v_cndmask_b32_e64 v38, v38, v50, s10
	v_cndmask_b32_e64 v148, v38, 0x7fff, s7
; %bb.1103:                             ;   in Loop: Header=BB6_1033 Depth=2
	s_or_b32 exec_lo, exec_lo, s26
	s_delay_alu instid0(VALU_DEP_1)
	v_mov_b32_e32 v150, v148
.LBB6_1104:                             ;   in Loop: Header=BB6_1033 Depth=2
	s_or_b32 exec_lo, exec_lo, s11
	s_delay_alu instid0(VALU_DEP_1)
	v_mov_b32_e32 v50, v150
.LBB6_1105:                             ;   in Loop: Header=BB6_1033 Depth=2
	v_and_b32_e32 v38, 0x7fff, v51
	v_and_b32_e32 v148, 0x7fff, v39
	v_perm_b32 v149, v39, v51, 0x5040100
	s_mov_b32 s11, -1
	s_and_b32 vcc_lo, exec_lo, s25
	v_cmp_lt_u16_e64 s7, 0x7c00, v38
	v_cmp_gt_u16_e64 s10, 0x7c01, v148
                                        ; implicit-def: $vgpr38
	s_delay_alu instid0(VALU_DEP_1) | instskip(NEXT) | instid1(SALU_CYCLE_1)
	s_and_b32 s26, s7, s10
	s_xor_b32 s26, s26, -1
	s_cbranch_vccz .LBB6_1111
; %bb.1106:                             ;   in Loop: Header=BB6_1033 Depth=2
	v_mov_b32_e32 v38, v39
	s_and_saveexec_b32 s27, s26
	s_cbranch_execz .LBB6_1110
; %bb.1107:                             ;   in Loop: Header=BB6_1033 Depth=2
	v_mov_b32_e32 v38, v51
	s_or_b32 s11, s7, s10
	s_delay_alu instid0(SALU_CYCLE_1)
	s_and_saveexec_b32 s28, s11
; %bb.1108:                             ;   in Loop: Header=BB6_1033 Depth=2
	v_lshrrev_b32_e32 v38, 16, v149
	v_cmp_lt_u16_e64 vcc_lo, 0x7c00, v148
	s_delay_alu instid0(VALU_DEP_2) | instskip(NEXT) | instid1(VALU_DEP_1)
	v_cmp_gt_f16_e64 s11, v149, v38
	v_cndmask_b32_e64 v38, v38, v149, s11
	s_delay_alu instid0(VALU_DEP_3)
	s_and_b32 s11, s7, vcc_lo
	s_delay_alu instid0(VALU_DEP_1) | instid1(SALU_CYCLE_1)
	v_cndmask_b32_e64 v38, v38, 0x7fff, s11
; %bb.1109:                             ;   in Loop: Header=BB6_1033 Depth=2
	s_or_b32 exec_lo, exec_lo, s28
.LBB6_1110:                             ;   in Loop: Header=BB6_1033 Depth=2
	s_delay_alu instid0(SALU_CYCLE_1)
	s_or_b32 exec_lo, exec_lo, s27
	s_mov_b32 s11, 0
.LBB6_1111:                             ;   in Loop: Header=BB6_1033 Depth=2
	s_delay_alu instid0(SALU_CYCLE_1)
	s_and_not1_b32 vcc_lo, exec_lo, s11
	s_cbranch_vccnz .LBB6_1117
; %bb.1112:                             ;   in Loop: Header=BB6_1033 Depth=2
	v_mov_b32_e32 v38, v39
	s_and_saveexec_b32 s11, s26
	s_cbranch_execz .LBB6_1116
; %bb.1113:                             ;   in Loop: Header=BB6_1033 Depth=2
	v_mov_b32_e32 v38, v51
	s_or_b32 s10, s7, s10
	s_delay_alu instid0(SALU_CYCLE_1)
	s_and_saveexec_b32 s26, s10
; %bb.1114:                             ;   in Loop: Header=BB6_1033 Depth=2
	v_lshrrev_b32_e32 v38, 16, v149
	v_cmp_lt_u16_e64 vcc_lo, 0x7c00, v148
	s_delay_alu instid0(VALU_DEP_2) | instskip(NEXT) | instid1(VALU_DEP_2)
	v_cmp_gt_f16_e64 s10, v149, v38
	s_and_b32 s7, s7, vcc_lo
	s_delay_alu instid0(VALU_DEP_1) | instskip(NEXT) | instid1(VALU_DEP_1)
	v_cndmask_b32_e64 v38, v149, v38, s10
	v_cndmask_b32_e64 v38, v38, 0x7fff, s7
; %bb.1115:                             ;   in Loop: Header=BB6_1033 Depth=2
	s_or_b32 exec_lo, exec_lo, s26
.LBB6_1116:                             ;   in Loop: Header=BB6_1033 Depth=2
	s_delay_alu instid0(SALU_CYCLE_1)
	s_or_b32 exec_lo, exec_lo, s11
.LBB6_1117:                             ;   in Loop: Header=BB6_1033 Depth=2
	v_lshrrev_b32_e32 v148, 16, v51
	v_lshrrev_b32_e32 v150, 16, v39
	v_perm_b32 v51, v39, v51, 0x7060302
	s_mov_b32 s11, -1
	s_and_b32 vcc_lo, exec_lo, s25
	v_and_b32_e32 v151, 0x7fff, v148
	v_and_b32_e32 v149, 0x7fff, v150
                                        ; implicit-def: $vgpr39
	s_delay_alu instid0(VALU_DEP_2) | instskip(NEXT) | instid1(VALU_DEP_2)
	v_cmp_lt_u16_e64 s7, 0x7c00, v151
	v_cmp_gt_u16_e64 s10, 0x7c01, v149
	s_delay_alu instid0(VALU_DEP_1) | instskip(NEXT) | instid1(SALU_CYCLE_1)
	s_and_b32 s26, s7, s10
	s_xor_b32 s26, s26, -1
	s_cbranch_vccz .LBB6_1123
; %bb.1118:                             ;   in Loop: Header=BB6_1033 Depth=2
	v_mov_b32_e32 v39, v150
	s_and_saveexec_b32 s27, s26
	s_cbranch_execz .LBB6_1122
; %bb.1119:                             ;   in Loop: Header=BB6_1033 Depth=2
	v_mov_b32_e32 v39, v148
	s_or_b32 s11, s7, s10
	s_delay_alu instid0(SALU_CYCLE_1)
	s_and_saveexec_b32 s28, s11
; %bb.1120:                             ;   in Loop: Header=BB6_1033 Depth=2
	v_lshrrev_b32_e32 v39, 16, v51
	v_cmp_lt_u16_e64 vcc_lo, 0x7c00, v149
	s_delay_alu instid0(VALU_DEP_2) | instskip(NEXT) | instid1(VALU_DEP_1)
	v_cmp_gt_f16_e64 s11, v51, v39
	v_cndmask_b32_e64 v39, v39, v51, s11
	s_delay_alu instid0(VALU_DEP_3)
	s_and_b32 s11, s7, vcc_lo
	s_delay_alu instid0(VALU_DEP_1) | instid1(SALU_CYCLE_1)
	v_cndmask_b32_e64 v39, v39, 0x7fff, s11
; %bb.1121:                             ;   in Loop: Header=BB6_1033 Depth=2
	s_or_b32 exec_lo, exec_lo, s28
.LBB6_1122:                             ;   in Loop: Header=BB6_1033 Depth=2
	s_delay_alu instid0(SALU_CYCLE_1)
	s_or_b32 exec_lo, exec_lo, s27
	s_mov_b32 s11, 0
.LBB6_1123:                             ;   in Loop: Header=BB6_1033 Depth=2
	s_delay_alu instid0(SALU_CYCLE_1)
	s_and_not1_b32 vcc_lo, exec_lo, s11
	s_cbranch_vccnz .LBB6_1129
; %bb.1124:                             ;   in Loop: Header=BB6_1033 Depth=2
	s_and_saveexec_b32 s11, s26
	s_cbranch_execz .LBB6_1128
; %bb.1125:                             ;   in Loop: Header=BB6_1033 Depth=2
	s_or_b32 s10, s7, s10
	s_delay_alu instid0(SALU_CYCLE_1)
	s_and_saveexec_b32 s26, s10
; %bb.1126:                             ;   in Loop: Header=BB6_1033 Depth=2
	v_lshrrev_b32_e32 v39, 16, v51
	v_cmp_lt_u16_e64 vcc_lo, 0x7c00, v149
	s_delay_alu instid0(VALU_DEP_2) | instskip(NEXT) | instid1(VALU_DEP_2)
	v_cmp_gt_f16_e64 s10, v51, v39
	s_and_b32 s7, s7, vcc_lo
	s_delay_alu instid0(VALU_DEP_1) | instskip(NEXT) | instid1(VALU_DEP_1)
	v_cndmask_b32_e64 v39, v51, v39, s10
	v_cndmask_b32_e64 v148, v39, 0x7fff, s7
; %bb.1127:                             ;   in Loop: Header=BB6_1033 Depth=2
	s_or_b32 exec_lo, exec_lo, s26
	s_delay_alu instid0(VALU_DEP_1)
	v_mov_b32_e32 v150, v148
.LBB6_1128:                             ;   in Loop: Header=BB6_1033 Depth=2
	s_or_b32 exec_lo, exec_lo, s11
	s_delay_alu instid0(VALU_DEP_1)
	v_mov_b32_e32 v39, v150
.LBB6_1129:                             ;   in Loop: Header=BB6_1033 Depth=2
	s_waitcnt vmcnt(5)
	v_and_b32_e32 v51, 0x7fff, v32
	s_waitcnt vmcnt(2)
	v_and_b32_e32 v148, 0x7fff, v26
	v_perm_b32 v149, v26, v32, 0x5040100
	s_mov_b32 s11, -1
	s_and_not1_b32 vcc_lo, exec_lo, s25
	v_cmp_lt_u16_e64 s7, 0x7c00, v51
	v_cmp_gt_u16_e64 s10, 0x7c01, v148
                                        ; implicit-def: $vgpr51
	s_delay_alu instid0(VALU_DEP_1) | instskip(NEXT) | instid1(SALU_CYCLE_1)
	s_and_b32 s26, s7, s10
	s_xor_b32 s26, s26, -1
	s_cbranch_vccnz .LBB6_1135
; %bb.1130:                             ;   in Loop: Header=BB6_1033 Depth=2
	v_mov_b32_e32 v51, v26
	s_and_saveexec_b32 s27, s26
	s_cbranch_execz .LBB6_1134
; %bb.1131:                             ;   in Loop: Header=BB6_1033 Depth=2
	v_mov_b32_e32 v51, v32
	s_or_b32 s11, s7, s10
	s_delay_alu instid0(SALU_CYCLE_1)
	s_and_saveexec_b32 s28, s11
; %bb.1132:                             ;   in Loop: Header=BB6_1033 Depth=2
	v_lshrrev_b32_e32 v51, 16, v149
	v_cmp_lt_u16_e64 vcc_lo, 0x7c00, v148
	s_delay_alu instid0(VALU_DEP_2) | instskip(NEXT) | instid1(VALU_DEP_1)
	v_cmp_gt_f16_e64 s11, v149, v51
	v_cndmask_b32_e64 v51, v51, v149, s11
	s_delay_alu instid0(VALU_DEP_3)
	s_and_b32 s11, s7, vcc_lo
	s_delay_alu instid0(VALU_DEP_1) | instid1(SALU_CYCLE_1)
	v_cndmask_b32_e64 v51, v51, 0x7fff, s11
; %bb.1133:                             ;   in Loop: Header=BB6_1033 Depth=2
	s_or_b32 exec_lo, exec_lo, s28
.LBB6_1134:                             ;   in Loop: Header=BB6_1033 Depth=2
	s_delay_alu instid0(SALU_CYCLE_1)
	s_or_b32 exec_lo, exec_lo, s27
	s_mov_b32 s11, 0
.LBB6_1135:                             ;   in Loop: Header=BB6_1033 Depth=2
	s_delay_alu instid0(SALU_CYCLE_1)
	s_and_not1_b32 vcc_lo, exec_lo, s11
	s_cbranch_vccnz .LBB6_1141
; %bb.1136:                             ;   in Loop: Header=BB6_1033 Depth=2
	v_mov_b32_e32 v51, v26
	s_and_saveexec_b32 s11, s26
	s_cbranch_execz .LBB6_1140
; %bb.1137:                             ;   in Loop: Header=BB6_1033 Depth=2
	v_mov_b32_e32 v51, v32
	s_or_b32 s10, s7, s10
	s_delay_alu instid0(SALU_CYCLE_1)
	s_and_saveexec_b32 s26, s10
; %bb.1138:                             ;   in Loop: Header=BB6_1033 Depth=2
	v_lshrrev_b32_e32 v51, 16, v149
	v_cmp_lt_u16_e64 vcc_lo, 0x7c00, v148
	s_delay_alu instid0(VALU_DEP_2) | instskip(NEXT) | instid1(VALU_DEP_2)
	v_cmp_gt_f16_e64 s10, v149, v51
	s_and_b32 s7, s7, vcc_lo
	s_delay_alu instid0(VALU_DEP_1) | instskip(NEXT) | instid1(VALU_DEP_1)
	v_cndmask_b32_e64 v51, v149, v51, s10
	v_cndmask_b32_e64 v51, v51, 0x7fff, s7
; %bb.1139:                             ;   in Loop: Header=BB6_1033 Depth=2
	s_or_b32 exec_lo, exec_lo, s26
.LBB6_1140:                             ;   in Loop: Header=BB6_1033 Depth=2
	s_delay_alu instid0(SALU_CYCLE_1)
	s_or_b32 exec_lo, exec_lo, s11
.LBB6_1141:                             ;   in Loop: Header=BB6_1033 Depth=2
	v_mov_b32_e32 v151, v32
	v_lshrrev_b32_e32 v150, 16, v26
	s_mov_b32 s11, -1
	s_and_not1_b32 vcc_lo, exec_lo, s25
	s_delay_alu instid0(VALU_DEP_2) | instskip(NEXT) | instid1(VALU_DEP_2)
	v_lshrrev_b32_e32 v148, 16, v151
	v_and_b32_e32 v149, 0x7fff, v150
	s_delay_alu instid0(VALU_DEP_2) | instskip(NEXT) | instid1(VALU_DEP_1)
	v_and_b32_e32 v32, 0x7fff, v148
	v_cmp_lt_u16_e64 s7, 0x7c00, v32
	v_mov_b32_e32 v32, v33
	s_delay_alu instid0(VALU_DEP_4) | instskip(SKIP_2) | instid1(VALU_DEP_3)
	v_cmp_gt_u16_e64 s10, 0x7c01, v149
	v_mov_b32_e32 v33, v27
	v_perm_b32 v27, v26, v151, 0x7060302
                                        ; implicit-def: $vgpr26
	s_and_b32 s26, s7, s10
	s_delay_alu instid0(SALU_CYCLE_1)
	s_xor_b32 s26, s26, -1
	s_cbranch_vccnz .LBB6_1147
; %bb.1142:                             ;   in Loop: Header=BB6_1033 Depth=2
	v_mov_b32_e32 v26, v150
	s_and_saveexec_b32 s27, s26
	s_cbranch_execz .LBB6_1146
; %bb.1143:                             ;   in Loop: Header=BB6_1033 Depth=2
	v_mov_b32_e32 v26, v148
	s_or_b32 s11, s7, s10
	s_delay_alu instid0(SALU_CYCLE_1)
	s_and_saveexec_b32 s28, s11
; %bb.1144:                             ;   in Loop: Header=BB6_1033 Depth=2
	v_lshrrev_b32_e32 v26, 16, v27
	v_cmp_lt_u16_e64 vcc_lo, 0x7c00, v149
	s_delay_alu instid0(VALU_DEP_2) | instskip(NEXT) | instid1(VALU_DEP_1)
	v_cmp_gt_f16_e64 s11, v27, v26
	v_cndmask_b32_e64 v26, v26, v27, s11
	s_delay_alu instid0(VALU_DEP_3)
	s_and_b32 s11, s7, vcc_lo
	s_delay_alu instid0(VALU_DEP_1) | instid1(SALU_CYCLE_1)
	v_cndmask_b32_e64 v26, v26, 0x7fff, s11
; %bb.1145:                             ;   in Loop: Header=BB6_1033 Depth=2
	s_or_b32 exec_lo, exec_lo, s28
.LBB6_1146:                             ;   in Loop: Header=BB6_1033 Depth=2
	s_delay_alu instid0(SALU_CYCLE_1)
	s_or_b32 exec_lo, exec_lo, s27
	s_mov_b32 s11, 0
.LBB6_1147:                             ;   in Loop: Header=BB6_1033 Depth=2
	s_delay_alu instid0(SALU_CYCLE_1)
	s_and_not1_b32 vcc_lo, exec_lo, s11
	s_cbranch_vccnz .LBB6_1153
; %bb.1148:                             ;   in Loop: Header=BB6_1033 Depth=2
	s_and_saveexec_b32 s11, s26
	s_cbranch_execz .LBB6_1152
; %bb.1149:                             ;   in Loop: Header=BB6_1033 Depth=2
	s_or_b32 s10, s7, s10
	s_delay_alu instid0(SALU_CYCLE_1)
	s_and_saveexec_b32 s26, s10
; %bb.1150:                             ;   in Loop: Header=BB6_1033 Depth=2
	v_lshrrev_b32_e32 v26, 16, v27
	v_cmp_lt_u16_e64 vcc_lo, 0x7c00, v149
	s_delay_alu instid0(VALU_DEP_2) | instskip(NEXT) | instid1(VALU_DEP_2)
	v_cmp_gt_f16_e64 s10, v27, v26
	s_and_b32 s7, s7, vcc_lo
	s_delay_alu instid0(VALU_DEP_1) | instskip(NEXT) | instid1(VALU_DEP_1)
	v_cndmask_b32_e64 v26, v27, v26, s10
	v_cndmask_b32_e64 v148, v26, 0x7fff, s7
; %bb.1151:                             ;   in Loop: Header=BB6_1033 Depth=2
	s_or_b32 exec_lo, exec_lo, s26
	s_delay_alu instid0(VALU_DEP_1)
	v_mov_b32_e32 v150, v148
.LBB6_1152:                             ;   in Loop: Header=BB6_1033 Depth=2
	s_or_b32 exec_lo, exec_lo, s11
	s_delay_alu instid0(VALU_DEP_1)
	v_mov_b32_e32 v26, v150
.LBB6_1153:                             ;   in Loop: Header=BB6_1033 Depth=2
	v_and_b32_e32 v27, 0x7fff, v32
	v_and_b32_e32 v148, 0x7fff, v33
	v_perm_b32 v149, v33, v32, 0x5040100
	s_mov_b32 s11, -1
	s_and_not1_b32 vcc_lo, exec_lo, s25
	v_cmp_lt_u16_e64 s7, 0x7c00, v27
	v_cmp_gt_u16_e64 s10, 0x7c01, v148
                                        ; implicit-def: $vgpr27
	s_delay_alu instid0(VALU_DEP_1) | instskip(NEXT) | instid1(SALU_CYCLE_1)
	s_and_b32 s26, s7, s10
	s_xor_b32 s26, s26, -1
	s_cbranch_vccnz .LBB6_1159
; %bb.1154:                             ;   in Loop: Header=BB6_1033 Depth=2
	v_mov_b32_e32 v27, v33
	s_and_saveexec_b32 s27, s26
	s_cbranch_execz .LBB6_1158
; %bb.1155:                             ;   in Loop: Header=BB6_1033 Depth=2
	v_mov_b32_e32 v27, v32
	s_or_b32 s11, s7, s10
	s_delay_alu instid0(SALU_CYCLE_1)
	s_and_saveexec_b32 s28, s11
; %bb.1156:                             ;   in Loop: Header=BB6_1033 Depth=2
	v_lshrrev_b32_e32 v27, 16, v149
	v_cmp_lt_u16_e64 vcc_lo, 0x7c00, v148
	s_delay_alu instid0(VALU_DEP_2) | instskip(NEXT) | instid1(VALU_DEP_1)
	v_cmp_gt_f16_e64 s11, v149, v27
	v_cndmask_b32_e64 v27, v27, v149, s11
	s_delay_alu instid0(VALU_DEP_3)
	s_and_b32 s11, s7, vcc_lo
	s_delay_alu instid0(VALU_DEP_1) | instid1(SALU_CYCLE_1)
	v_cndmask_b32_e64 v27, v27, 0x7fff, s11
; %bb.1157:                             ;   in Loop: Header=BB6_1033 Depth=2
	s_or_b32 exec_lo, exec_lo, s28
.LBB6_1158:                             ;   in Loop: Header=BB6_1033 Depth=2
	s_delay_alu instid0(SALU_CYCLE_1)
	s_or_b32 exec_lo, exec_lo, s27
	s_mov_b32 s11, 0
.LBB6_1159:                             ;   in Loop: Header=BB6_1033 Depth=2
	s_delay_alu instid0(SALU_CYCLE_1)
	s_and_not1_b32 vcc_lo, exec_lo, s11
	s_cbranch_vccnz .LBB6_1165
; %bb.1160:                             ;   in Loop: Header=BB6_1033 Depth=2
	v_mov_b32_e32 v27, v33
	s_and_saveexec_b32 s11, s26
	s_cbranch_execz .LBB6_1164
; %bb.1161:                             ;   in Loop: Header=BB6_1033 Depth=2
	v_mov_b32_e32 v27, v32
	s_or_b32 s10, s7, s10
	s_delay_alu instid0(SALU_CYCLE_1)
	s_and_saveexec_b32 s26, s10
; %bb.1162:                             ;   in Loop: Header=BB6_1033 Depth=2
	v_lshrrev_b32_e32 v27, 16, v149
	v_cmp_lt_u16_e64 vcc_lo, 0x7c00, v148
	s_delay_alu instid0(VALU_DEP_2) | instskip(NEXT) | instid1(VALU_DEP_2)
	v_cmp_gt_f16_e64 s10, v149, v27
	s_and_b32 s7, s7, vcc_lo
	s_delay_alu instid0(VALU_DEP_1) | instskip(NEXT) | instid1(VALU_DEP_1)
	v_cndmask_b32_e64 v27, v149, v27, s10
	v_cndmask_b32_e64 v27, v27, 0x7fff, s7
; %bb.1163:                             ;   in Loop: Header=BB6_1033 Depth=2
	s_or_b32 exec_lo, exec_lo, s26
.LBB6_1164:                             ;   in Loop: Header=BB6_1033 Depth=2
	s_delay_alu instid0(SALU_CYCLE_1)
	s_or_b32 exec_lo, exec_lo, s11
.LBB6_1165:                             ;   in Loop: Header=BB6_1033 Depth=2
	v_lshrrev_b32_e32 v148, 16, v32
	v_lshrrev_b32_e32 v150, 16, v33
	v_perm_b32 v33, v33, v32, 0x7060302
	s_mov_b32 s11, -1
	s_and_not1_b32 vcc_lo, exec_lo, s25
	v_and_b32_e32 v151, 0x7fff, v148
	v_and_b32_e32 v149, 0x7fff, v150
                                        ; implicit-def: $vgpr32
	s_delay_alu instid0(VALU_DEP_2) | instskip(NEXT) | instid1(VALU_DEP_2)
	v_cmp_lt_u16_e64 s7, 0x7c00, v151
	v_cmp_gt_u16_e64 s10, 0x7c01, v149
	s_delay_alu instid0(VALU_DEP_1) | instskip(NEXT) | instid1(SALU_CYCLE_1)
	s_and_b32 s26, s7, s10
	s_xor_b32 s26, s26, -1
	s_cbranch_vccnz .LBB6_1171
; %bb.1166:                             ;   in Loop: Header=BB6_1033 Depth=2
	v_mov_b32_e32 v32, v150
	s_and_saveexec_b32 s27, s26
	s_cbranch_execz .LBB6_1170
; %bb.1167:                             ;   in Loop: Header=BB6_1033 Depth=2
	v_mov_b32_e32 v32, v148
	s_or_b32 s11, s7, s10
	s_delay_alu instid0(SALU_CYCLE_1)
	s_and_saveexec_b32 s28, s11
; %bb.1168:                             ;   in Loop: Header=BB6_1033 Depth=2
	v_lshrrev_b32_e32 v32, 16, v33
	v_cmp_lt_u16_e64 vcc_lo, 0x7c00, v149
	s_delay_alu instid0(VALU_DEP_2) | instskip(NEXT) | instid1(VALU_DEP_1)
	v_cmp_gt_f16_e64 s11, v33, v32
	v_cndmask_b32_e64 v32, v32, v33, s11
	s_delay_alu instid0(VALU_DEP_3)
	s_and_b32 s11, s7, vcc_lo
	s_delay_alu instid0(VALU_DEP_1) | instid1(SALU_CYCLE_1)
	v_cndmask_b32_e64 v32, v32, 0x7fff, s11
; %bb.1169:                             ;   in Loop: Header=BB6_1033 Depth=2
	s_or_b32 exec_lo, exec_lo, s28
.LBB6_1170:                             ;   in Loop: Header=BB6_1033 Depth=2
	s_delay_alu instid0(SALU_CYCLE_1)
	s_or_b32 exec_lo, exec_lo, s27
	s_mov_b32 s11, 0
.LBB6_1171:                             ;   in Loop: Header=BB6_1033 Depth=2
	s_delay_alu instid0(SALU_CYCLE_1)
	s_and_not1_b32 vcc_lo, exec_lo, s11
	s_cbranch_vccnz .LBB6_1177
; %bb.1172:                             ;   in Loop: Header=BB6_1033 Depth=2
	s_and_saveexec_b32 s11, s26
	s_cbranch_execz .LBB6_1176
; %bb.1173:                             ;   in Loop: Header=BB6_1033 Depth=2
	s_or_b32 s10, s7, s10
	s_delay_alu instid0(SALU_CYCLE_1)
	s_and_saveexec_b32 s26, s10
; %bb.1174:                             ;   in Loop: Header=BB6_1033 Depth=2
	v_lshrrev_b32_e32 v32, 16, v33
	v_cmp_lt_u16_e64 vcc_lo, 0x7c00, v149
	s_delay_alu instid0(VALU_DEP_2) | instskip(NEXT) | instid1(VALU_DEP_2)
	v_cmp_gt_f16_e64 s10, v33, v32
	s_and_b32 s7, s7, vcc_lo
	s_delay_alu instid0(VALU_DEP_1) | instskip(NEXT) | instid1(VALU_DEP_1)
	v_cndmask_b32_e64 v32, v33, v32, s10
	v_cndmask_b32_e64 v148, v32, 0x7fff, s7
; %bb.1175:                             ;   in Loop: Header=BB6_1033 Depth=2
	s_or_b32 exec_lo, exec_lo, s26
	s_delay_alu instid0(VALU_DEP_1)
	v_mov_b32_e32 v150, v148
.LBB6_1176:                             ;   in Loop: Header=BB6_1033 Depth=2
	s_or_b32 exec_lo, exec_lo, s11
	s_delay_alu instid0(VALU_DEP_1)
	v_mov_b32_e32 v32, v150
.LBB6_1177:                             ;   in Loop: Header=BB6_1033 Depth=2
	v_and_b32_e32 v33, 0x7fff, v34
	v_and_b32_e32 v148, 0x7fff, v28
	v_perm_b32 v149, v28, v34, 0x5040100
	s_mov_b32 s11, -1
	s_and_not1_b32 vcc_lo, exec_lo, s25
	v_cmp_lt_u16_e64 s7, 0x7c00, v33
	v_cmp_gt_u16_e64 s10, 0x7c01, v148
                                        ; implicit-def: $vgpr33
	s_delay_alu instid0(VALU_DEP_1) | instskip(NEXT) | instid1(SALU_CYCLE_1)
	s_and_b32 s26, s7, s10
	s_xor_b32 s26, s26, -1
	s_cbranch_vccnz .LBB6_1183
; %bb.1178:                             ;   in Loop: Header=BB6_1033 Depth=2
	v_mov_b32_e32 v33, v28
	s_and_saveexec_b32 s27, s26
	s_cbranch_execz .LBB6_1182
; %bb.1179:                             ;   in Loop: Header=BB6_1033 Depth=2
	v_mov_b32_e32 v33, v34
	s_or_b32 s11, s7, s10
	s_delay_alu instid0(SALU_CYCLE_1)
	s_and_saveexec_b32 s28, s11
; %bb.1180:                             ;   in Loop: Header=BB6_1033 Depth=2
	v_lshrrev_b32_e32 v33, 16, v149
	v_cmp_lt_u16_e64 vcc_lo, 0x7c00, v148
	s_delay_alu instid0(VALU_DEP_2) | instskip(NEXT) | instid1(VALU_DEP_1)
	v_cmp_gt_f16_e64 s11, v149, v33
	v_cndmask_b32_e64 v33, v33, v149, s11
	s_delay_alu instid0(VALU_DEP_3)
	s_and_b32 s11, s7, vcc_lo
	s_delay_alu instid0(VALU_DEP_1) | instid1(SALU_CYCLE_1)
	v_cndmask_b32_e64 v33, v33, 0x7fff, s11
; %bb.1181:                             ;   in Loop: Header=BB6_1033 Depth=2
	s_or_b32 exec_lo, exec_lo, s28
.LBB6_1182:                             ;   in Loop: Header=BB6_1033 Depth=2
	s_delay_alu instid0(SALU_CYCLE_1)
	s_or_b32 exec_lo, exec_lo, s27
	s_mov_b32 s11, 0
.LBB6_1183:                             ;   in Loop: Header=BB6_1033 Depth=2
	s_delay_alu instid0(SALU_CYCLE_1)
	s_and_not1_b32 vcc_lo, exec_lo, s11
	s_cbranch_vccnz .LBB6_1189
; %bb.1184:                             ;   in Loop: Header=BB6_1033 Depth=2
	v_mov_b32_e32 v33, v28
	s_and_saveexec_b32 s11, s26
	s_cbranch_execz .LBB6_1188
; %bb.1185:                             ;   in Loop: Header=BB6_1033 Depth=2
	v_mov_b32_e32 v33, v34
	s_or_b32 s10, s7, s10
	s_delay_alu instid0(SALU_CYCLE_1)
	s_and_saveexec_b32 s26, s10
; %bb.1186:                             ;   in Loop: Header=BB6_1033 Depth=2
	v_lshrrev_b32_e32 v33, 16, v149
	v_cmp_lt_u16_e64 vcc_lo, 0x7c00, v148
	s_delay_alu instid0(VALU_DEP_2) | instskip(NEXT) | instid1(VALU_DEP_2)
	v_cmp_gt_f16_e64 s10, v149, v33
	s_and_b32 s7, s7, vcc_lo
	s_delay_alu instid0(VALU_DEP_1) | instskip(NEXT) | instid1(VALU_DEP_1)
	v_cndmask_b32_e64 v33, v149, v33, s10
	v_cndmask_b32_e64 v33, v33, 0x7fff, s7
; %bb.1187:                             ;   in Loop: Header=BB6_1033 Depth=2
	s_or_b32 exec_lo, exec_lo, s26
.LBB6_1188:                             ;   in Loop: Header=BB6_1033 Depth=2
	s_delay_alu instid0(SALU_CYCLE_1)
	s_or_b32 exec_lo, exec_lo, s11
.LBB6_1189:                             ;   in Loop: Header=BB6_1033 Depth=2
	v_mov_b32_e32 v150, v34
	v_lshrrev_b32_e32 v149, 16, v28
	s_mov_b32 s11, -1
	s_and_not1_b32 vcc_lo, exec_lo, s25
	s_delay_alu instid0(VALU_DEP_2) | instskip(NEXT) | instid1(VALU_DEP_2)
	v_lshrrev_b32_e32 v34, 16, v150
	v_and_b32_e32 v148, 0x7fff, v149
	s_delay_alu instid0(VALU_DEP_2) | instskip(NEXT) | instid1(VALU_DEP_2)
	v_and_b32_e32 v151, 0x7fff, v34
	v_cmp_gt_u16_e64 s10, 0x7c01, v148
	v_perm_b32 v150, v28, v150, 0x7060302
                                        ; implicit-def: $vgpr28
	s_delay_alu instid0(VALU_DEP_3) | instskip(NEXT) | instid1(VALU_DEP_1)
	v_cmp_lt_u16_e64 s7, 0x7c00, v151
	s_and_b32 s26, s7, s10
	s_delay_alu instid0(SALU_CYCLE_1)
	s_xor_b32 s26, s26, -1
	s_cbranch_vccnz .LBB6_1195
; %bb.1190:                             ;   in Loop: Header=BB6_1033 Depth=2
	v_mov_b32_e32 v28, v149
	s_and_saveexec_b32 s27, s26
	s_cbranch_execz .LBB6_1194
; %bb.1191:                             ;   in Loop: Header=BB6_1033 Depth=2
	v_mov_b32_e32 v28, v34
	s_or_b32 s11, s7, s10
	s_delay_alu instid0(SALU_CYCLE_1)
	s_and_saveexec_b32 s28, s11
; %bb.1192:                             ;   in Loop: Header=BB6_1033 Depth=2
	v_lshrrev_b32_e32 v28, 16, v150
	v_cmp_lt_u16_e64 vcc_lo, 0x7c00, v148
	s_delay_alu instid0(VALU_DEP_2) | instskip(NEXT) | instid1(VALU_DEP_1)
	v_cmp_gt_f16_e64 s11, v150, v28
	v_cndmask_b32_e64 v28, v28, v150, s11
	s_delay_alu instid0(VALU_DEP_3)
	s_and_b32 s11, s7, vcc_lo
	s_delay_alu instid0(VALU_DEP_1) | instid1(SALU_CYCLE_1)
	v_cndmask_b32_e64 v28, v28, 0x7fff, s11
; %bb.1193:                             ;   in Loop: Header=BB6_1033 Depth=2
	s_or_b32 exec_lo, exec_lo, s28
.LBB6_1194:                             ;   in Loop: Header=BB6_1033 Depth=2
	s_delay_alu instid0(SALU_CYCLE_1)
	s_or_b32 exec_lo, exec_lo, s27
	s_mov_b32 s11, 0
.LBB6_1195:                             ;   in Loop: Header=BB6_1033 Depth=2
	s_delay_alu instid0(SALU_CYCLE_1)
	s_and_not1_b32 vcc_lo, exec_lo, s11
	s_cbranch_vccnz .LBB6_1201
; %bb.1196:                             ;   in Loop: Header=BB6_1033 Depth=2
	s_and_saveexec_b32 s11, s26
	s_cbranch_execz .LBB6_1200
; %bb.1197:                             ;   in Loop: Header=BB6_1033 Depth=2
	s_or_b32 s10, s7, s10
	s_delay_alu instid0(SALU_CYCLE_1)
	s_and_saveexec_b32 s26, s10
; %bb.1198:                             ;   in Loop: Header=BB6_1033 Depth=2
	v_lshrrev_b32_e32 v28, 16, v150
	v_cmp_lt_u16_e64 vcc_lo, 0x7c00, v148
	s_delay_alu instid0(VALU_DEP_2) | instskip(NEXT) | instid1(VALU_DEP_2)
	v_cmp_gt_f16_e64 s10, v150, v28
	s_and_b32 s7, s7, vcc_lo
	s_delay_alu instid0(VALU_DEP_1) | instskip(NEXT) | instid1(VALU_DEP_1)
	v_cndmask_b32_e64 v28, v150, v28, s10
	v_cndmask_b32_e64 v34, v28, 0x7fff, s7
; %bb.1199:                             ;   in Loop: Header=BB6_1033 Depth=2
	s_or_b32 exec_lo, exec_lo, s26
	s_delay_alu instid0(VALU_DEP_1)
	v_mov_b32_e32 v149, v34
.LBB6_1200:                             ;   in Loop: Header=BB6_1033 Depth=2
	s_or_b32 exec_lo, exec_lo, s11
	s_delay_alu instid0(VALU_DEP_1)
	v_mov_b32_e32 v28, v149
.LBB6_1201:                             ;   in Loop: Header=BB6_1033 Depth=2
	v_and_b32_e32 v34, 0x7fff, v35
	v_and_b32_e32 v148, 0x7fff, v29
	v_perm_b32 v149, v29, v35, 0x5040100
	s_mov_b32 s11, -1
	s_and_not1_b32 vcc_lo, exec_lo, s25
	v_cmp_lt_u16_e64 s7, 0x7c00, v34
	v_cmp_gt_u16_e64 s10, 0x7c01, v148
                                        ; implicit-def: $vgpr34
	s_delay_alu instid0(VALU_DEP_1) | instskip(NEXT) | instid1(SALU_CYCLE_1)
	s_and_b32 s26, s7, s10
	s_xor_b32 s26, s26, -1
	s_cbranch_vccnz .LBB6_1207
; %bb.1202:                             ;   in Loop: Header=BB6_1033 Depth=2
	v_mov_b32_e32 v34, v29
	s_and_saveexec_b32 s27, s26
	s_cbranch_execz .LBB6_1206
; %bb.1203:                             ;   in Loop: Header=BB6_1033 Depth=2
	v_mov_b32_e32 v34, v35
	s_or_b32 s11, s7, s10
	s_delay_alu instid0(SALU_CYCLE_1)
	s_and_saveexec_b32 s28, s11
; %bb.1204:                             ;   in Loop: Header=BB6_1033 Depth=2
	v_lshrrev_b32_e32 v34, 16, v149
	v_cmp_lt_u16_e64 vcc_lo, 0x7c00, v148
	s_delay_alu instid0(VALU_DEP_2) | instskip(NEXT) | instid1(VALU_DEP_1)
	v_cmp_gt_f16_e64 s11, v149, v34
	v_cndmask_b32_e64 v34, v34, v149, s11
	s_delay_alu instid0(VALU_DEP_3)
	s_and_b32 s11, s7, vcc_lo
	s_delay_alu instid0(VALU_DEP_1) | instid1(SALU_CYCLE_1)
	v_cndmask_b32_e64 v34, v34, 0x7fff, s11
; %bb.1205:                             ;   in Loop: Header=BB6_1033 Depth=2
	s_or_b32 exec_lo, exec_lo, s28
.LBB6_1206:                             ;   in Loop: Header=BB6_1033 Depth=2
	s_delay_alu instid0(SALU_CYCLE_1)
	s_or_b32 exec_lo, exec_lo, s27
	s_mov_b32 s11, 0
.LBB6_1207:                             ;   in Loop: Header=BB6_1033 Depth=2
	s_delay_alu instid0(SALU_CYCLE_1)
	s_and_not1_b32 vcc_lo, exec_lo, s11
	s_cbranch_vccnz .LBB6_1213
; %bb.1208:                             ;   in Loop: Header=BB6_1033 Depth=2
	v_mov_b32_e32 v34, v29
	s_and_saveexec_b32 s11, s26
	s_cbranch_execz .LBB6_1212
; %bb.1209:                             ;   in Loop: Header=BB6_1033 Depth=2
	v_mov_b32_e32 v34, v35
	s_or_b32 s10, s7, s10
	s_delay_alu instid0(SALU_CYCLE_1)
	s_and_saveexec_b32 s26, s10
; %bb.1210:                             ;   in Loop: Header=BB6_1033 Depth=2
	v_lshrrev_b32_e32 v34, 16, v149
	v_cmp_lt_u16_e64 vcc_lo, 0x7c00, v148
	s_delay_alu instid0(VALU_DEP_2) | instskip(NEXT) | instid1(VALU_DEP_2)
	v_cmp_gt_f16_e64 s10, v149, v34
	s_and_b32 s7, s7, vcc_lo
	s_delay_alu instid0(VALU_DEP_1) | instskip(NEXT) | instid1(VALU_DEP_1)
	v_cndmask_b32_e64 v34, v149, v34, s10
	v_cndmask_b32_e64 v34, v34, 0x7fff, s7
; %bb.1211:                             ;   in Loop: Header=BB6_1033 Depth=2
	s_or_b32 exec_lo, exec_lo, s26
.LBB6_1212:                             ;   in Loop: Header=BB6_1033 Depth=2
	s_delay_alu instid0(SALU_CYCLE_1)
	s_or_b32 exec_lo, exec_lo, s11
.LBB6_1213:                             ;   in Loop: Header=BB6_1033 Depth=2
	v_lshrrev_b32_e32 v148, 16, v35
	v_lshrrev_b32_e32 v150, 16, v29
	v_perm_b32 v35, v29, v35, 0x7060302
	s_mov_b32 s11, -1
	s_and_not1_b32 vcc_lo, exec_lo, s25
	v_and_b32_e32 v151, 0x7fff, v148
	v_and_b32_e32 v149, 0x7fff, v150
                                        ; implicit-def: $vgpr29
	s_delay_alu instid0(VALU_DEP_2) | instskip(NEXT) | instid1(VALU_DEP_2)
	v_cmp_lt_u16_e64 s7, 0x7c00, v151
	v_cmp_gt_u16_e64 s10, 0x7c01, v149
	s_delay_alu instid0(VALU_DEP_1) | instskip(NEXT) | instid1(SALU_CYCLE_1)
	s_and_b32 s26, s7, s10
	s_xor_b32 s26, s26, -1
	s_cbranch_vccnz .LBB6_1219
; %bb.1214:                             ;   in Loop: Header=BB6_1033 Depth=2
	v_mov_b32_e32 v29, v150
	s_and_saveexec_b32 s27, s26
	s_cbranch_execz .LBB6_1218
; %bb.1215:                             ;   in Loop: Header=BB6_1033 Depth=2
	v_mov_b32_e32 v29, v148
	s_or_b32 s11, s7, s10
	s_delay_alu instid0(SALU_CYCLE_1)
	s_and_saveexec_b32 s28, s11
; %bb.1216:                             ;   in Loop: Header=BB6_1033 Depth=2
	v_lshrrev_b32_e32 v29, 16, v35
	v_cmp_lt_u16_e64 vcc_lo, 0x7c00, v149
	s_delay_alu instid0(VALU_DEP_2) | instskip(NEXT) | instid1(VALU_DEP_1)
	v_cmp_gt_f16_e64 s11, v35, v29
	v_cndmask_b32_e64 v29, v29, v35, s11
	s_delay_alu instid0(VALU_DEP_3)
	s_and_b32 s11, s7, vcc_lo
	s_delay_alu instid0(VALU_DEP_1) | instid1(SALU_CYCLE_1)
	v_cndmask_b32_e64 v29, v29, 0x7fff, s11
; %bb.1217:                             ;   in Loop: Header=BB6_1033 Depth=2
	s_or_b32 exec_lo, exec_lo, s28
.LBB6_1218:                             ;   in Loop: Header=BB6_1033 Depth=2
	s_delay_alu instid0(SALU_CYCLE_1)
	s_or_b32 exec_lo, exec_lo, s27
	s_mov_b32 s11, 0
.LBB6_1219:                             ;   in Loop: Header=BB6_1033 Depth=2
	s_delay_alu instid0(SALU_CYCLE_1)
	s_and_not1_b32 vcc_lo, exec_lo, s11
	s_cbranch_vccnz .LBB6_1225
; %bb.1220:                             ;   in Loop: Header=BB6_1033 Depth=2
	s_and_saveexec_b32 s11, s26
	s_cbranch_execz .LBB6_1224
; %bb.1221:                             ;   in Loop: Header=BB6_1033 Depth=2
	s_or_b32 s10, s7, s10
	s_delay_alu instid0(SALU_CYCLE_1)
	s_and_saveexec_b32 s26, s10
; %bb.1222:                             ;   in Loop: Header=BB6_1033 Depth=2
	v_lshrrev_b32_e32 v29, 16, v35
	v_cmp_lt_u16_e64 vcc_lo, 0x7c00, v149
	s_delay_alu instid0(VALU_DEP_2) | instskip(NEXT) | instid1(VALU_DEP_2)
	v_cmp_gt_f16_e64 s10, v35, v29
	s_and_b32 s7, s7, vcc_lo
	s_delay_alu instid0(VALU_DEP_1) | instskip(NEXT) | instid1(VALU_DEP_1)
	v_cndmask_b32_e64 v29, v35, v29, s10
	v_cndmask_b32_e64 v148, v29, 0x7fff, s7
; %bb.1223:                             ;   in Loop: Header=BB6_1033 Depth=2
	s_or_b32 exec_lo, exec_lo, s26
	s_delay_alu instid0(VALU_DEP_1)
	v_mov_b32_e32 v150, v148
.LBB6_1224:                             ;   in Loop: Header=BB6_1033 Depth=2
	s_or_b32 exec_lo, exec_lo, s11
	s_delay_alu instid0(VALU_DEP_1)
	v_mov_b32_e32 v29, v150
.LBB6_1225:                             ;   in Loop: Header=BB6_1033 Depth=2
	v_and_b32_e32 v35, 0x7fff, v22
	s_waitcnt vmcnt(1)
	v_and_b32_e32 v148, 0x7fff, v18
	v_perm_b32 v149, v18, v22, 0x5040100
	s_mov_b32 s11, -1
	s_and_not1_b32 vcc_lo, exec_lo, s25
	v_cmp_lt_u16_e64 s7, 0x7c00, v35
	v_cmp_gt_u16_e64 s10, 0x7c01, v148
                                        ; implicit-def: $vgpr35
	s_delay_alu instid0(VALU_DEP_1) | instskip(NEXT) | instid1(SALU_CYCLE_1)
	s_and_b32 s26, s7, s10
	s_xor_b32 s26, s26, -1
	s_cbranch_vccnz .LBB6_1231
; %bb.1226:                             ;   in Loop: Header=BB6_1033 Depth=2
	v_mov_b32_e32 v35, v18
	s_and_saveexec_b32 s27, s26
	s_cbranch_execz .LBB6_1230
; %bb.1227:                             ;   in Loop: Header=BB6_1033 Depth=2
	v_mov_b32_e32 v35, v22
	s_or_b32 s11, s7, s10
	s_delay_alu instid0(SALU_CYCLE_1)
	s_and_saveexec_b32 s28, s11
; %bb.1228:                             ;   in Loop: Header=BB6_1033 Depth=2
	v_lshrrev_b32_e32 v35, 16, v149
	v_cmp_lt_u16_e64 vcc_lo, 0x7c00, v148
	s_delay_alu instid0(VALU_DEP_2) | instskip(NEXT) | instid1(VALU_DEP_1)
	v_cmp_gt_f16_e64 s11, v149, v35
	v_cndmask_b32_e64 v35, v35, v149, s11
	s_delay_alu instid0(VALU_DEP_3)
	s_and_b32 s11, s7, vcc_lo
	s_delay_alu instid0(VALU_DEP_1) | instid1(SALU_CYCLE_1)
	v_cndmask_b32_e64 v35, v35, 0x7fff, s11
; %bb.1229:                             ;   in Loop: Header=BB6_1033 Depth=2
	s_or_b32 exec_lo, exec_lo, s28
.LBB6_1230:                             ;   in Loop: Header=BB6_1033 Depth=2
	s_delay_alu instid0(SALU_CYCLE_1)
	s_or_b32 exec_lo, exec_lo, s27
	s_mov_b32 s11, 0
.LBB6_1231:                             ;   in Loop: Header=BB6_1033 Depth=2
	s_delay_alu instid0(SALU_CYCLE_1)
	s_and_not1_b32 vcc_lo, exec_lo, s11
	s_cbranch_vccnz .LBB6_1237
; %bb.1232:                             ;   in Loop: Header=BB6_1033 Depth=2
	v_mov_b32_e32 v35, v18
	s_and_saveexec_b32 s11, s26
	s_cbranch_execz .LBB6_1236
; %bb.1233:                             ;   in Loop: Header=BB6_1033 Depth=2
	v_mov_b32_e32 v35, v22
	s_or_b32 s10, s7, s10
	s_delay_alu instid0(SALU_CYCLE_1)
	s_and_saveexec_b32 s26, s10
; %bb.1234:                             ;   in Loop: Header=BB6_1033 Depth=2
	v_lshrrev_b32_e32 v35, 16, v149
	v_cmp_lt_u16_e64 vcc_lo, 0x7c00, v148
	s_delay_alu instid0(VALU_DEP_2) | instskip(NEXT) | instid1(VALU_DEP_2)
	v_cmp_gt_f16_e64 s10, v149, v35
	s_and_b32 s7, s7, vcc_lo
	s_delay_alu instid0(VALU_DEP_1) | instskip(NEXT) | instid1(VALU_DEP_1)
	v_cndmask_b32_e64 v35, v149, v35, s10
	v_cndmask_b32_e64 v35, v35, 0x7fff, s7
; %bb.1235:                             ;   in Loop: Header=BB6_1033 Depth=2
	s_or_b32 exec_lo, exec_lo, s26
.LBB6_1236:                             ;   in Loop: Header=BB6_1033 Depth=2
	s_delay_alu instid0(SALU_CYCLE_1)
	s_or_b32 exec_lo, exec_lo, s11
.LBB6_1237:                             ;   in Loop: Header=BB6_1033 Depth=2
	v_mov_b32_e32 v151, v22
	v_lshrrev_b32_e32 v150, 16, v18
	s_mov_b32 s11, -1
	s_and_not1_b32 vcc_lo, exec_lo, s25
	s_delay_alu instid0(VALU_DEP_2) | instskip(NEXT) | instid1(VALU_DEP_2)
	v_lshrrev_b32_e32 v148, 16, v151
	v_and_b32_e32 v149, 0x7fff, v150
	s_delay_alu instid0(VALU_DEP_2) | instskip(NEXT) | instid1(VALU_DEP_1)
	v_and_b32_e32 v22, 0x7fff, v148
	v_cmp_lt_u16_e64 s7, 0x7c00, v22
	v_mov_b32_e32 v22, v23
	s_delay_alu instid0(VALU_DEP_4) | instskip(SKIP_2) | instid1(VALU_DEP_3)
	v_cmp_gt_u16_e64 s10, 0x7c01, v149
	v_mov_b32_e32 v23, v19
	v_perm_b32 v19, v18, v151, 0x7060302
                                        ; implicit-def: $vgpr18
	s_and_b32 s26, s7, s10
	s_delay_alu instid0(SALU_CYCLE_1)
	s_xor_b32 s26, s26, -1
	s_cbranch_vccnz .LBB6_1243
; %bb.1238:                             ;   in Loop: Header=BB6_1033 Depth=2
	v_mov_b32_e32 v18, v150
	s_and_saveexec_b32 s27, s26
	s_cbranch_execz .LBB6_1242
; %bb.1239:                             ;   in Loop: Header=BB6_1033 Depth=2
	v_mov_b32_e32 v18, v148
	s_or_b32 s11, s7, s10
	s_delay_alu instid0(SALU_CYCLE_1)
	s_and_saveexec_b32 s28, s11
; %bb.1240:                             ;   in Loop: Header=BB6_1033 Depth=2
	v_lshrrev_b32_e32 v18, 16, v19
	v_cmp_lt_u16_e64 vcc_lo, 0x7c00, v149
	s_delay_alu instid0(VALU_DEP_2) | instskip(NEXT) | instid1(VALU_DEP_1)
	v_cmp_gt_f16_e64 s11, v19, v18
	v_cndmask_b32_e64 v18, v18, v19, s11
	s_delay_alu instid0(VALU_DEP_3)
	s_and_b32 s11, s7, vcc_lo
	s_delay_alu instid0(VALU_DEP_1) | instid1(SALU_CYCLE_1)
	v_cndmask_b32_e64 v18, v18, 0x7fff, s11
; %bb.1241:                             ;   in Loop: Header=BB6_1033 Depth=2
	s_or_b32 exec_lo, exec_lo, s28
.LBB6_1242:                             ;   in Loop: Header=BB6_1033 Depth=2
	s_delay_alu instid0(SALU_CYCLE_1)
	s_or_b32 exec_lo, exec_lo, s27
	s_mov_b32 s11, 0
.LBB6_1243:                             ;   in Loop: Header=BB6_1033 Depth=2
	s_delay_alu instid0(SALU_CYCLE_1)
	s_and_not1_b32 vcc_lo, exec_lo, s11
	s_cbranch_vccnz .LBB6_1249
; %bb.1244:                             ;   in Loop: Header=BB6_1033 Depth=2
	s_and_saveexec_b32 s11, s26
	s_cbranch_execz .LBB6_1248
; %bb.1245:                             ;   in Loop: Header=BB6_1033 Depth=2
	s_or_b32 s10, s7, s10
	s_delay_alu instid0(SALU_CYCLE_1)
	s_and_saveexec_b32 s26, s10
; %bb.1246:                             ;   in Loop: Header=BB6_1033 Depth=2
	v_lshrrev_b32_e32 v18, 16, v19
	v_cmp_lt_u16_e64 vcc_lo, 0x7c00, v149
	s_delay_alu instid0(VALU_DEP_2) | instskip(NEXT) | instid1(VALU_DEP_2)
	v_cmp_gt_f16_e64 s10, v19, v18
	s_and_b32 s7, s7, vcc_lo
	s_delay_alu instid0(VALU_DEP_1) | instskip(NEXT) | instid1(VALU_DEP_1)
	v_cndmask_b32_e64 v18, v19, v18, s10
	v_cndmask_b32_e64 v148, v18, 0x7fff, s7
; %bb.1247:                             ;   in Loop: Header=BB6_1033 Depth=2
	s_or_b32 exec_lo, exec_lo, s26
	s_delay_alu instid0(VALU_DEP_1)
	v_mov_b32_e32 v150, v148
.LBB6_1248:                             ;   in Loop: Header=BB6_1033 Depth=2
	s_or_b32 exec_lo, exec_lo, s11
	s_delay_alu instid0(VALU_DEP_1)
	v_mov_b32_e32 v18, v150
.LBB6_1249:                             ;   in Loop: Header=BB6_1033 Depth=2
	v_and_b32_e32 v19, 0x7fff, v22
	v_and_b32_e32 v148, 0x7fff, v23
	v_perm_b32 v149, v23, v22, 0x5040100
	s_mov_b32 s11, -1
	s_and_not1_b32 vcc_lo, exec_lo, s25
	v_cmp_lt_u16_e64 s7, 0x7c00, v19
	v_cmp_gt_u16_e64 s10, 0x7c01, v148
                                        ; implicit-def: $vgpr19
	s_delay_alu instid0(VALU_DEP_1) | instskip(NEXT) | instid1(SALU_CYCLE_1)
	s_and_b32 s26, s7, s10
	s_xor_b32 s26, s26, -1
	s_cbranch_vccnz .LBB6_1255
; %bb.1250:                             ;   in Loop: Header=BB6_1033 Depth=2
	v_mov_b32_e32 v19, v23
	s_and_saveexec_b32 s27, s26
	s_cbranch_execz .LBB6_1254
; %bb.1251:                             ;   in Loop: Header=BB6_1033 Depth=2
	v_mov_b32_e32 v19, v22
	s_or_b32 s11, s7, s10
	s_delay_alu instid0(SALU_CYCLE_1)
	s_and_saveexec_b32 s28, s11
; %bb.1252:                             ;   in Loop: Header=BB6_1033 Depth=2
	v_lshrrev_b32_e32 v19, 16, v149
	v_cmp_lt_u16_e64 vcc_lo, 0x7c00, v148
	s_delay_alu instid0(VALU_DEP_2) | instskip(NEXT) | instid1(VALU_DEP_1)
	v_cmp_gt_f16_e64 s11, v149, v19
	v_cndmask_b32_e64 v19, v19, v149, s11
	s_delay_alu instid0(VALU_DEP_3)
	s_and_b32 s11, s7, vcc_lo
	s_delay_alu instid0(VALU_DEP_1) | instid1(SALU_CYCLE_1)
	v_cndmask_b32_e64 v19, v19, 0x7fff, s11
; %bb.1253:                             ;   in Loop: Header=BB6_1033 Depth=2
	s_or_b32 exec_lo, exec_lo, s28
.LBB6_1254:                             ;   in Loop: Header=BB6_1033 Depth=2
	s_delay_alu instid0(SALU_CYCLE_1)
	s_or_b32 exec_lo, exec_lo, s27
	s_mov_b32 s11, 0
.LBB6_1255:                             ;   in Loop: Header=BB6_1033 Depth=2
	s_delay_alu instid0(SALU_CYCLE_1)
	s_and_not1_b32 vcc_lo, exec_lo, s11
	s_cbranch_vccnz .LBB6_1261
; %bb.1256:                             ;   in Loop: Header=BB6_1033 Depth=2
	v_mov_b32_e32 v19, v23
	s_and_saveexec_b32 s11, s26
	s_cbranch_execz .LBB6_1260
; %bb.1257:                             ;   in Loop: Header=BB6_1033 Depth=2
	v_mov_b32_e32 v19, v22
	s_or_b32 s10, s7, s10
	s_delay_alu instid0(SALU_CYCLE_1)
	s_and_saveexec_b32 s26, s10
; %bb.1258:                             ;   in Loop: Header=BB6_1033 Depth=2
	v_lshrrev_b32_e32 v19, 16, v149
	v_cmp_lt_u16_e64 vcc_lo, 0x7c00, v148
	s_delay_alu instid0(VALU_DEP_2) | instskip(NEXT) | instid1(VALU_DEP_2)
	v_cmp_gt_f16_e64 s10, v149, v19
	s_and_b32 s7, s7, vcc_lo
	s_delay_alu instid0(VALU_DEP_1) | instskip(NEXT) | instid1(VALU_DEP_1)
	v_cndmask_b32_e64 v19, v149, v19, s10
	v_cndmask_b32_e64 v19, v19, 0x7fff, s7
; %bb.1259:                             ;   in Loop: Header=BB6_1033 Depth=2
	s_or_b32 exec_lo, exec_lo, s26
.LBB6_1260:                             ;   in Loop: Header=BB6_1033 Depth=2
	s_delay_alu instid0(SALU_CYCLE_1)
	s_or_b32 exec_lo, exec_lo, s11
.LBB6_1261:                             ;   in Loop: Header=BB6_1033 Depth=2
	v_lshrrev_b32_e32 v148, 16, v22
	v_lshrrev_b32_e32 v150, 16, v23
	v_perm_b32 v23, v23, v22, 0x7060302
	s_mov_b32 s11, -1
	s_and_not1_b32 vcc_lo, exec_lo, s25
	v_and_b32_e32 v151, 0x7fff, v148
	v_and_b32_e32 v149, 0x7fff, v150
                                        ; implicit-def: $vgpr22
	s_delay_alu instid0(VALU_DEP_2) | instskip(NEXT) | instid1(VALU_DEP_2)
	v_cmp_lt_u16_e64 s7, 0x7c00, v151
	v_cmp_gt_u16_e64 s10, 0x7c01, v149
	s_delay_alu instid0(VALU_DEP_1) | instskip(NEXT) | instid1(SALU_CYCLE_1)
	s_and_b32 s26, s7, s10
	s_xor_b32 s26, s26, -1
	s_cbranch_vccnz .LBB6_1267
; %bb.1262:                             ;   in Loop: Header=BB6_1033 Depth=2
	v_mov_b32_e32 v22, v150
	s_and_saveexec_b32 s27, s26
	s_cbranch_execz .LBB6_1266
; %bb.1263:                             ;   in Loop: Header=BB6_1033 Depth=2
	v_mov_b32_e32 v22, v148
	s_or_b32 s11, s7, s10
	s_delay_alu instid0(SALU_CYCLE_1)
	s_and_saveexec_b32 s28, s11
; %bb.1264:                             ;   in Loop: Header=BB6_1033 Depth=2
	v_lshrrev_b32_e32 v22, 16, v23
	v_cmp_lt_u16_e64 vcc_lo, 0x7c00, v149
	s_delay_alu instid0(VALU_DEP_2) | instskip(NEXT) | instid1(VALU_DEP_1)
	v_cmp_gt_f16_e64 s11, v23, v22
	v_cndmask_b32_e64 v22, v22, v23, s11
	s_delay_alu instid0(VALU_DEP_3)
	s_and_b32 s11, s7, vcc_lo
	s_delay_alu instid0(VALU_DEP_1) | instid1(SALU_CYCLE_1)
	v_cndmask_b32_e64 v22, v22, 0x7fff, s11
; %bb.1265:                             ;   in Loop: Header=BB6_1033 Depth=2
	s_or_b32 exec_lo, exec_lo, s28
.LBB6_1266:                             ;   in Loop: Header=BB6_1033 Depth=2
	s_delay_alu instid0(SALU_CYCLE_1)
	s_or_b32 exec_lo, exec_lo, s27
	s_mov_b32 s11, 0
.LBB6_1267:                             ;   in Loop: Header=BB6_1033 Depth=2
	s_delay_alu instid0(SALU_CYCLE_1)
	s_and_not1_b32 vcc_lo, exec_lo, s11
	s_cbranch_vccnz .LBB6_1273
; %bb.1268:                             ;   in Loop: Header=BB6_1033 Depth=2
	s_and_saveexec_b32 s11, s26
	s_cbranch_execz .LBB6_1272
; %bb.1269:                             ;   in Loop: Header=BB6_1033 Depth=2
	s_or_b32 s10, s7, s10
	s_delay_alu instid0(SALU_CYCLE_1)
	s_and_saveexec_b32 s26, s10
; %bb.1270:                             ;   in Loop: Header=BB6_1033 Depth=2
	v_lshrrev_b32_e32 v22, 16, v23
	v_cmp_lt_u16_e64 vcc_lo, 0x7c00, v149
	s_delay_alu instid0(VALU_DEP_2) | instskip(NEXT) | instid1(VALU_DEP_2)
	v_cmp_gt_f16_e64 s10, v23, v22
	s_and_b32 s7, s7, vcc_lo
	s_delay_alu instid0(VALU_DEP_1) | instskip(NEXT) | instid1(VALU_DEP_1)
	v_cndmask_b32_e64 v22, v23, v22, s10
	v_cndmask_b32_e64 v148, v22, 0x7fff, s7
; %bb.1271:                             ;   in Loop: Header=BB6_1033 Depth=2
	s_or_b32 exec_lo, exec_lo, s26
	s_delay_alu instid0(VALU_DEP_1)
	v_mov_b32_e32 v150, v148
.LBB6_1272:                             ;   in Loop: Header=BB6_1033 Depth=2
	s_or_b32 exec_lo, exec_lo, s11
	s_delay_alu instid0(VALU_DEP_1)
	v_mov_b32_e32 v22, v150
.LBB6_1273:                             ;   in Loop: Header=BB6_1033 Depth=2
	v_and_b32_e32 v23, 0x7fff, v24
	v_and_b32_e32 v148, 0x7fff, v20
	v_perm_b32 v149, v20, v24, 0x5040100
	s_mov_b32 s11, -1
	s_and_not1_b32 vcc_lo, exec_lo, s25
	v_cmp_lt_u16_e64 s7, 0x7c00, v23
	v_cmp_gt_u16_e64 s10, 0x7c01, v148
                                        ; implicit-def: $vgpr23
	s_delay_alu instid0(VALU_DEP_1) | instskip(NEXT) | instid1(SALU_CYCLE_1)
	s_and_b32 s26, s7, s10
	s_xor_b32 s26, s26, -1
	s_cbranch_vccnz .LBB6_1279
; %bb.1274:                             ;   in Loop: Header=BB6_1033 Depth=2
	v_mov_b32_e32 v23, v20
	s_and_saveexec_b32 s27, s26
	s_cbranch_execz .LBB6_1278
; %bb.1275:                             ;   in Loop: Header=BB6_1033 Depth=2
	v_mov_b32_e32 v23, v24
	s_or_b32 s11, s7, s10
	s_delay_alu instid0(SALU_CYCLE_1)
	s_and_saveexec_b32 s28, s11
; %bb.1276:                             ;   in Loop: Header=BB6_1033 Depth=2
	v_lshrrev_b32_e32 v23, 16, v149
	v_cmp_lt_u16_e64 vcc_lo, 0x7c00, v148
	s_delay_alu instid0(VALU_DEP_2) | instskip(NEXT) | instid1(VALU_DEP_1)
	v_cmp_gt_f16_e64 s11, v149, v23
	v_cndmask_b32_e64 v23, v23, v149, s11
	s_delay_alu instid0(VALU_DEP_3)
	s_and_b32 s11, s7, vcc_lo
	s_delay_alu instid0(VALU_DEP_1) | instid1(SALU_CYCLE_1)
	v_cndmask_b32_e64 v23, v23, 0x7fff, s11
; %bb.1277:                             ;   in Loop: Header=BB6_1033 Depth=2
	s_or_b32 exec_lo, exec_lo, s28
.LBB6_1278:                             ;   in Loop: Header=BB6_1033 Depth=2
	s_delay_alu instid0(SALU_CYCLE_1)
	s_or_b32 exec_lo, exec_lo, s27
	s_mov_b32 s11, 0
.LBB6_1279:                             ;   in Loop: Header=BB6_1033 Depth=2
	s_delay_alu instid0(SALU_CYCLE_1)
	s_and_not1_b32 vcc_lo, exec_lo, s11
	s_cbranch_vccnz .LBB6_1285
; %bb.1280:                             ;   in Loop: Header=BB6_1033 Depth=2
	v_mov_b32_e32 v23, v20
	s_and_saveexec_b32 s11, s26
	s_cbranch_execz .LBB6_1284
; %bb.1281:                             ;   in Loop: Header=BB6_1033 Depth=2
	v_mov_b32_e32 v23, v24
	s_or_b32 s10, s7, s10
	s_delay_alu instid0(SALU_CYCLE_1)
	s_and_saveexec_b32 s26, s10
; %bb.1282:                             ;   in Loop: Header=BB6_1033 Depth=2
	v_lshrrev_b32_e32 v23, 16, v149
	v_cmp_lt_u16_e64 vcc_lo, 0x7c00, v148
	s_delay_alu instid0(VALU_DEP_2) | instskip(NEXT) | instid1(VALU_DEP_2)
	v_cmp_gt_f16_e64 s10, v149, v23
	s_and_b32 s7, s7, vcc_lo
	s_delay_alu instid0(VALU_DEP_1) | instskip(NEXT) | instid1(VALU_DEP_1)
	v_cndmask_b32_e64 v23, v149, v23, s10
	v_cndmask_b32_e64 v23, v23, 0x7fff, s7
; %bb.1283:                             ;   in Loop: Header=BB6_1033 Depth=2
	s_or_b32 exec_lo, exec_lo, s26
.LBB6_1284:                             ;   in Loop: Header=BB6_1033 Depth=2
	s_delay_alu instid0(SALU_CYCLE_1)
	s_or_b32 exec_lo, exec_lo, s11
.LBB6_1285:                             ;   in Loop: Header=BB6_1033 Depth=2
	v_mov_b32_e32 v150, v24
	v_lshrrev_b32_e32 v149, 16, v20
	s_mov_b32 s11, -1
	s_and_not1_b32 vcc_lo, exec_lo, s25
	s_delay_alu instid0(VALU_DEP_2) | instskip(NEXT) | instid1(VALU_DEP_2)
	v_lshrrev_b32_e32 v24, 16, v150
	v_and_b32_e32 v148, 0x7fff, v149
	s_delay_alu instid0(VALU_DEP_2) | instskip(NEXT) | instid1(VALU_DEP_2)
	v_and_b32_e32 v151, 0x7fff, v24
	v_cmp_gt_u16_e64 s10, 0x7c01, v148
	v_perm_b32 v150, v20, v150, 0x7060302
                                        ; implicit-def: $vgpr20
	s_delay_alu instid0(VALU_DEP_3) | instskip(NEXT) | instid1(VALU_DEP_1)
	v_cmp_lt_u16_e64 s7, 0x7c00, v151
	s_and_b32 s26, s7, s10
	s_delay_alu instid0(SALU_CYCLE_1)
	s_xor_b32 s26, s26, -1
	s_cbranch_vccnz .LBB6_1291
; %bb.1286:                             ;   in Loop: Header=BB6_1033 Depth=2
	v_mov_b32_e32 v20, v149
	s_and_saveexec_b32 s27, s26
	s_cbranch_execz .LBB6_1290
; %bb.1287:                             ;   in Loop: Header=BB6_1033 Depth=2
	v_mov_b32_e32 v20, v24
	s_or_b32 s11, s7, s10
	s_delay_alu instid0(SALU_CYCLE_1)
	s_and_saveexec_b32 s28, s11
; %bb.1288:                             ;   in Loop: Header=BB6_1033 Depth=2
	v_lshrrev_b32_e32 v20, 16, v150
	v_cmp_lt_u16_e64 vcc_lo, 0x7c00, v148
	s_delay_alu instid0(VALU_DEP_2) | instskip(NEXT) | instid1(VALU_DEP_1)
	v_cmp_gt_f16_e64 s11, v150, v20
	v_cndmask_b32_e64 v20, v20, v150, s11
	s_delay_alu instid0(VALU_DEP_3)
	s_and_b32 s11, s7, vcc_lo
	s_delay_alu instid0(VALU_DEP_1) | instid1(SALU_CYCLE_1)
	v_cndmask_b32_e64 v20, v20, 0x7fff, s11
; %bb.1289:                             ;   in Loop: Header=BB6_1033 Depth=2
	s_or_b32 exec_lo, exec_lo, s28
.LBB6_1290:                             ;   in Loop: Header=BB6_1033 Depth=2
	s_delay_alu instid0(SALU_CYCLE_1)
	s_or_b32 exec_lo, exec_lo, s27
	s_mov_b32 s11, 0
.LBB6_1291:                             ;   in Loop: Header=BB6_1033 Depth=2
	s_delay_alu instid0(SALU_CYCLE_1)
	s_and_not1_b32 vcc_lo, exec_lo, s11
	s_cbranch_vccnz .LBB6_1297
; %bb.1292:                             ;   in Loop: Header=BB6_1033 Depth=2
	s_and_saveexec_b32 s11, s26
	s_cbranch_execz .LBB6_1296
; %bb.1293:                             ;   in Loop: Header=BB6_1033 Depth=2
	s_or_b32 s10, s7, s10
	s_delay_alu instid0(SALU_CYCLE_1)
	s_and_saveexec_b32 s26, s10
; %bb.1294:                             ;   in Loop: Header=BB6_1033 Depth=2
	v_lshrrev_b32_e32 v20, 16, v150
	v_cmp_lt_u16_e64 vcc_lo, 0x7c00, v148
	s_delay_alu instid0(VALU_DEP_2) | instskip(NEXT) | instid1(VALU_DEP_2)
	v_cmp_gt_f16_e64 s10, v150, v20
	s_and_b32 s7, s7, vcc_lo
	s_delay_alu instid0(VALU_DEP_1) | instskip(NEXT) | instid1(VALU_DEP_1)
	v_cndmask_b32_e64 v20, v150, v20, s10
	v_cndmask_b32_e64 v24, v20, 0x7fff, s7
; %bb.1295:                             ;   in Loop: Header=BB6_1033 Depth=2
	s_or_b32 exec_lo, exec_lo, s26
	s_delay_alu instid0(VALU_DEP_1)
	v_mov_b32_e32 v149, v24
.LBB6_1296:                             ;   in Loop: Header=BB6_1033 Depth=2
	s_or_b32 exec_lo, exec_lo, s11
	s_delay_alu instid0(VALU_DEP_1)
	v_mov_b32_e32 v20, v149
.LBB6_1297:                             ;   in Loop: Header=BB6_1033 Depth=2
	v_and_b32_e32 v24, 0x7fff, v25
	v_and_b32_e32 v148, 0x7fff, v21
	v_perm_b32 v149, v21, v25, 0x5040100
	s_mov_b32 s11, -1
	s_and_not1_b32 vcc_lo, exec_lo, s25
	v_cmp_lt_u16_e64 s7, 0x7c00, v24
	v_cmp_gt_u16_e64 s10, 0x7c01, v148
                                        ; implicit-def: $vgpr24
	s_delay_alu instid0(VALU_DEP_1) | instskip(NEXT) | instid1(SALU_CYCLE_1)
	s_and_b32 s26, s7, s10
	s_xor_b32 s26, s26, -1
	s_cbranch_vccnz .LBB6_1303
; %bb.1298:                             ;   in Loop: Header=BB6_1033 Depth=2
	v_mov_b32_e32 v24, v21
	s_and_saveexec_b32 s27, s26
	s_cbranch_execz .LBB6_1302
; %bb.1299:                             ;   in Loop: Header=BB6_1033 Depth=2
	v_mov_b32_e32 v24, v25
	s_or_b32 s11, s7, s10
	s_delay_alu instid0(SALU_CYCLE_1)
	s_and_saveexec_b32 s28, s11
; %bb.1300:                             ;   in Loop: Header=BB6_1033 Depth=2
	v_lshrrev_b32_e32 v24, 16, v149
	v_cmp_lt_u16_e64 vcc_lo, 0x7c00, v148
	s_delay_alu instid0(VALU_DEP_2) | instskip(NEXT) | instid1(VALU_DEP_1)
	v_cmp_gt_f16_e64 s11, v149, v24
	v_cndmask_b32_e64 v24, v24, v149, s11
	s_delay_alu instid0(VALU_DEP_3)
	s_and_b32 s11, s7, vcc_lo
	s_delay_alu instid0(VALU_DEP_1) | instid1(SALU_CYCLE_1)
	v_cndmask_b32_e64 v24, v24, 0x7fff, s11
; %bb.1301:                             ;   in Loop: Header=BB6_1033 Depth=2
	s_or_b32 exec_lo, exec_lo, s28
.LBB6_1302:                             ;   in Loop: Header=BB6_1033 Depth=2
	s_delay_alu instid0(SALU_CYCLE_1)
	s_or_b32 exec_lo, exec_lo, s27
	s_mov_b32 s11, 0
.LBB6_1303:                             ;   in Loop: Header=BB6_1033 Depth=2
	s_delay_alu instid0(SALU_CYCLE_1)
	s_and_not1_b32 vcc_lo, exec_lo, s11
	s_cbranch_vccnz .LBB6_1309
; %bb.1304:                             ;   in Loop: Header=BB6_1033 Depth=2
	v_mov_b32_e32 v24, v21
	s_and_saveexec_b32 s11, s26
	s_cbranch_execz .LBB6_1308
; %bb.1305:                             ;   in Loop: Header=BB6_1033 Depth=2
	v_mov_b32_e32 v24, v25
	s_or_b32 s10, s7, s10
	s_delay_alu instid0(SALU_CYCLE_1)
	s_and_saveexec_b32 s26, s10
; %bb.1306:                             ;   in Loop: Header=BB6_1033 Depth=2
	v_lshrrev_b32_e32 v24, 16, v149
	v_cmp_lt_u16_e64 vcc_lo, 0x7c00, v148
	s_delay_alu instid0(VALU_DEP_2) | instskip(NEXT) | instid1(VALU_DEP_2)
	v_cmp_gt_f16_e64 s10, v149, v24
	s_and_b32 s7, s7, vcc_lo
	s_delay_alu instid0(VALU_DEP_1) | instskip(NEXT) | instid1(VALU_DEP_1)
	v_cndmask_b32_e64 v24, v149, v24, s10
	v_cndmask_b32_e64 v24, v24, 0x7fff, s7
; %bb.1307:                             ;   in Loop: Header=BB6_1033 Depth=2
	s_or_b32 exec_lo, exec_lo, s26
.LBB6_1308:                             ;   in Loop: Header=BB6_1033 Depth=2
	s_delay_alu instid0(SALU_CYCLE_1)
	s_or_b32 exec_lo, exec_lo, s11
.LBB6_1309:                             ;   in Loop: Header=BB6_1033 Depth=2
	v_lshrrev_b32_e32 v148, 16, v25
	v_lshrrev_b32_e32 v150, 16, v21
	v_perm_b32 v25, v21, v25, 0x7060302
	s_mov_b32 s11, -1
	s_and_not1_b32 vcc_lo, exec_lo, s25
	v_and_b32_e32 v151, 0x7fff, v148
	v_and_b32_e32 v149, 0x7fff, v150
                                        ; implicit-def: $vgpr21
	s_delay_alu instid0(VALU_DEP_2) | instskip(NEXT) | instid1(VALU_DEP_2)
	v_cmp_lt_u16_e64 s7, 0x7c00, v151
	v_cmp_gt_u16_e64 s10, 0x7c01, v149
	s_delay_alu instid0(VALU_DEP_1) | instskip(NEXT) | instid1(SALU_CYCLE_1)
	s_and_b32 s26, s7, s10
	s_xor_b32 s26, s26, -1
	s_cbranch_vccnz .LBB6_1315
; %bb.1310:                             ;   in Loop: Header=BB6_1033 Depth=2
	v_mov_b32_e32 v21, v150
	s_and_saveexec_b32 s27, s26
	s_cbranch_execz .LBB6_1314
; %bb.1311:                             ;   in Loop: Header=BB6_1033 Depth=2
	v_mov_b32_e32 v21, v148
	s_or_b32 s11, s7, s10
	s_delay_alu instid0(SALU_CYCLE_1)
	s_and_saveexec_b32 s28, s11
; %bb.1312:                             ;   in Loop: Header=BB6_1033 Depth=2
	v_lshrrev_b32_e32 v21, 16, v25
	v_cmp_lt_u16_e64 vcc_lo, 0x7c00, v149
	s_delay_alu instid0(VALU_DEP_2) | instskip(NEXT) | instid1(VALU_DEP_1)
	v_cmp_gt_f16_e64 s11, v25, v21
	v_cndmask_b32_e64 v21, v21, v25, s11
	s_delay_alu instid0(VALU_DEP_3)
	s_and_b32 s11, s7, vcc_lo
	s_delay_alu instid0(VALU_DEP_1) | instid1(SALU_CYCLE_1)
	v_cndmask_b32_e64 v21, v21, 0x7fff, s11
; %bb.1313:                             ;   in Loop: Header=BB6_1033 Depth=2
	s_or_b32 exec_lo, exec_lo, s28
.LBB6_1314:                             ;   in Loop: Header=BB6_1033 Depth=2
	s_delay_alu instid0(SALU_CYCLE_1)
	s_or_b32 exec_lo, exec_lo, s27
	s_mov_b32 s11, 0
.LBB6_1315:                             ;   in Loop: Header=BB6_1033 Depth=2
	s_delay_alu instid0(SALU_CYCLE_1)
	s_and_not1_b32 vcc_lo, exec_lo, s11
	s_cbranch_vccnz .LBB6_1321
; %bb.1316:                             ;   in Loop: Header=BB6_1033 Depth=2
	s_and_saveexec_b32 s11, s26
	s_cbranch_execz .LBB6_1320
; %bb.1317:                             ;   in Loop: Header=BB6_1033 Depth=2
	s_or_b32 s10, s7, s10
	s_delay_alu instid0(SALU_CYCLE_1)
	s_and_saveexec_b32 s26, s10
; %bb.1318:                             ;   in Loop: Header=BB6_1033 Depth=2
	v_lshrrev_b32_e32 v21, 16, v25
	v_cmp_lt_u16_e64 vcc_lo, 0x7c00, v149
	s_delay_alu instid0(VALU_DEP_2) | instskip(NEXT) | instid1(VALU_DEP_2)
	v_cmp_gt_f16_e64 s10, v25, v21
	s_and_b32 s7, s7, vcc_lo
	s_delay_alu instid0(VALU_DEP_1) | instskip(NEXT) | instid1(VALU_DEP_1)
	v_cndmask_b32_e64 v21, v25, v21, s10
	v_cndmask_b32_e64 v148, v21, 0x7fff, s7
; %bb.1319:                             ;   in Loop: Header=BB6_1033 Depth=2
	s_or_b32 exec_lo, exec_lo, s26
	s_delay_alu instid0(VALU_DEP_1)
	v_mov_b32_e32 v150, v148
.LBB6_1320:                             ;   in Loop: Header=BB6_1033 Depth=2
	s_or_b32 exec_lo, exec_lo, s11
	s_delay_alu instid0(VALU_DEP_1)
	v_mov_b32_e32 v21, v150
.LBB6_1321:                             ;   in Loop: Header=BB6_1033 Depth=2
	v_and_b32_e32 v25, 0x7fff, v14
	s_waitcnt vmcnt(0)
	v_and_b32_e32 v148, 0x7fff, v10
	v_perm_b32 v149, v10, v14, 0x5040100
	s_mov_b32 s11, -1
	s_and_not1_b32 vcc_lo, exec_lo, s25
	v_cmp_lt_u16_e64 s7, 0x7c00, v25
	v_cmp_gt_u16_e64 s10, 0x7c01, v148
                                        ; implicit-def: $vgpr25
	s_delay_alu instid0(VALU_DEP_1) | instskip(NEXT) | instid1(SALU_CYCLE_1)
	s_and_b32 s26, s7, s10
	s_xor_b32 s26, s26, -1
	s_cbranch_vccnz .LBB6_1327
; %bb.1322:                             ;   in Loop: Header=BB6_1033 Depth=2
	v_mov_b32_e32 v25, v10
	s_and_saveexec_b32 s27, s26
	s_cbranch_execz .LBB6_1326
; %bb.1323:                             ;   in Loop: Header=BB6_1033 Depth=2
	v_mov_b32_e32 v25, v14
	s_or_b32 s11, s7, s10
	s_delay_alu instid0(SALU_CYCLE_1)
	s_and_saveexec_b32 s28, s11
; %bb.1324:                             ;   in Loop: Header=BB6_1033 Depth=2
	v_lshrrev_b32_e32 v25, 16, v149
	v_cmp_lt_u16_e64 vcc_lo, 0x7c00, v148
	s_delay_alu instid0(VALU_DEP_2) | instskip(NEXT) | instid1(VALU_DEP_1)
	v_cmp_gt_f16_e64 s11, v149, v25
	v_cndmask_b32_e64 v25, v25, v149, s11
	s_delay_alu instid0(VALU_DEP_3)
	s_and_b32 s11, s7, vcc_lo
	s_delay_alu instid0(VALU_DEP_1) | instid1(SALU_CYCLE_1)
	v_cndmask_b32_e64 v25, v25, 0x7fff, s11
; %bb.1325:                             ;   in Loop: Header=BB6_1033 Depth=2
	s_or_b32 exec_lo, exec_lo, s28
.LBB6_1326:                             ;   in Loop: Header=BB6_1033 Depth=2
	s_delay_alu instid0(SALU_CYCLE_1)
	s_or_b32 exec_lo, exec_lo, s27
	s_mov_b32 s11, 0
.LBB6_1327:                             ;   in Loop: Header=BB6_1033 Depth=2
	s_delay_alu instid0(SALU_CYCLE_1)
	s_and_not1_b32 vcc_lo, exec_lo, s11
	s_cbranch_vccnz .LBB6_1333
; %bb.1328:                             ;   in Loop: Header=BB6_1033 Depth=2
	v_mov_b32_e32 v25, v10
	s_and_saveexec_b32 s11, s26
	s_cbranch_execz .LBB6_1332
; %bb.1329:                             ;   in Loop: Header=BB6_1033 Depth=2
	v_mov_b32_e32 v25, v14
	s_or_b32 s10, s7, s10
	s_delay_alu instid0(SALU_CYCLE_1)
	s_and_saveexec_b32 s26, s10
; %bb.1330:                             ;   in Loop: Header=BB6_1033 Depth=2
	v_lshrrev_b32_e32 v25, 16, v149
	v_cmp_lt_u16_e64 vcc_lo, 0x7c00, v148
	s_delay_alu instid0(VALU_DEP_2) | instskip(NEXT) | instid1(VALU_DEP_2)
	v_cmp_gt_f16_e64 s10, v149, v25
	s_and_b32 s7, s7, vcc_lo
	s_delay_alu instid0(VALU_DEP_1) | instskip(NEXT) | instid1(VALU_DEP_1)
	v_cndmask_b32_e64 v25, v149, v25, s10
	v_cndmask_b32_e64 v25, v25, 0x7fff, s7
; %bb.1331:                             ;   in Loop: Header=BB6_1033 Depth=2
	s_or_b32 exec_lo, exec_lo, s26
.LBB6_1332:                             ;   in Loop: Header=BB6_1033 Depth=2
	s_delay_alu instid0(SALU_CYCLE_1)
	s_or_b32 exec_lo, exec_lo, s11
.LBB6_1333:                             ;   in Loop: Header=BB6_1033 Depth=2
	v_mov_b32_e32 v151, v14
	v_lshrrev_b32_e32 v150, 16, v10
	s_mov_b32 s11, -1
	s_and_not1_b32 vcc_lo, exec_lo, s25
	s_delay_alu instid0(VALU_DEP_2) | instskip(NEXT) | instid1(VALU_DEP_2)
	v_lshrrev_b32_e32 v148, 16, v151
	v_and_b32_e32 v149, 0x7fff, v150
	s_delay_alu instid0(VALU_DEP_2) | instskip(NEXT) | instid1(VALU_DEP_1)
	v_and_b32_e32 v14, 0x7fff, v148
	v_cmp_lt_u16_e64 s7, 0x7c00, v14
	v_mov_b32_e32 v14, v15
	s_delay_alu instid0(VALU_DEP_4) | instskip(SKIP_2) | instid1(VALU_DEP_3)
	v_cmp_gt_u16_e64 s10, 0x7c01, v149
	v_mov_b32_e32 v15, v11
	v_perm_b32 v11, v10, v151, 0x7060302
                                        ; implicit-def: $vgpr10
	s_and_b32 s26, s7, s10
	s_delay_alu instid0(SALU_CYCLE_1)
	s_xor_b32 s26, s26, -1
	s_cbranch_vccnz .LBB6_1339
; %bb.1334:                             ;   in Loop: Header=BB6_1033 Depth=2
	v_mov_b32_e32 v10, v150
	s_and_saveexec_b32 s27, s26
	s_cbranch_execz .LBB6_1338
; %bb.1335:                             ;   in Loop: Header=BB6_1033 Depth=2
	v_mov_b32_e32 v10, v148
	s_or_b32 s11, s7, s10
	s_delay_alu instid0(SALU_CYCLE_1)
	s_and_saveexec_b32 s28, s11
; %bb.1336:                             ;   in Loop: Header=BB6_1033 Depth=2
	v_lshrrev_b32_e32 v10, 16, v11
	v_cmp_lt_u16_e64 vcc_lo, 0x7c00, v149
	s_delay_alu instid0(VALU_DEP_2) | instskip(NEXT) | instid1(VALU_DEP_1)
	v_cmp_gt_f16_e64 s11, v11, v10
	v_cndmask_b32_e64 v10, v10, v11, s11
	s_delay_alu instid0(VALU_DEP_3)
	s_and_b32 s11, s7, vcc_lo
	s_delay_alu instid0(VALU_DEP_1) | instid1(SALU_CYCLE_1)
	v_cndmask_b32_e64 v10, v10, 0x7fff, s11
; %bb.1337:                             ;   in Loop: Header=BB6_1033 Depth=2
	s_or_b32 exec_lo, exec_lo, s28
.LBB6_1338:                             ;   in Loop: Header=BB6_1033 Depth=2
	s_delay_alu instid0(SALU_CYCLE_1)
	s_or_b32 exec_lo, exec_lo, s27
	s_mov_b32 s11, 0
.LBB6_1339:                             ;   in Loop: Header=BB6_1033 Depth=2
	s_delay_alu instid0(SALU_CYCLE_1)
	s_and_not1_b32 vcc_lo, exec_lo, s11
	s_cbranch_vccnz .LBB6_1345
; %bb.1340:                             ;   in Loop: Header=BB6_1033 Depth=2
	s_and_saveexec_b32 s11, s26
	s_cbranch_execz .LBB6_1344
; %bb.1341:                             ;   in Loop: Header=BB6_1033 Depth=2
	s_or_b32 s10, s7, s10
	s_delay_alu instid0(SALU_CYCLE_1)
	s_and_saveexec_b32 s26, s10
; %bb.1342:                             ;   in Loop: Header=BB6_1033 Depth=2
	v_lshrrev_b32_e32 v10, 16, v11
	v_cmp_lt_u16_e64 vcc_lo, 0x7c00, v149
	s_delay_alu instid0(VALU_DEP_2) | instskip(NEXT) | instid1(VALU_DEP_2)
	v_cmp_gt_f16_e64 s10, v11, v10
	s_and_b32 s7, s7, vcc_lo
	s_delay_alu instid0(VALU_DEP_1) | instskip(NEXT) | instid1(VALU_DEP_1)
	v_cndmask_b32_e64 v10, v11, v10, s10
	v_cndmask_b32_e64 v148, v10, 0x7fff, s7
; %bb.1343:                             ;   in Loop: Header=BB6_1033 Depth=2
	s_or_b32 exec_lo, exec_lo, s26
	s_delay_alu instid0(VALU_DEP_1)
	v_mov_b32_e32 v150, v148
.LBB6_1344:                             ;   in Loop: Header=BB6_1033 Depth=2
	s_or_b32 exec_lo, exec_lo, s11
	s_delay_alu instid0(VALU_DEP_1)
	v_mov_b32_e32 v10, v150
.LBB6_1345:                             ;   in Loop: Header=BB6_1033 Depth=2
	v_and_b32_e32 v11, 0x7fff, v14
	v_and_b32_e32 v148, 0x7fff, v15
	v_perm_b32 v149, v15, v14, 0x5040100
	s_mov_b32 s11, -1
	s_and_not1_b32 vcc_lo, exec_lo, s25
	v_cmp_lt_u16_e64 s7, 0x7c00, v11
	v_cmp_gt_u16_e64 s10, 0x7c01, v148
                                        ; implicit-def: $vgpr11
	s_delay_alu instid0(VALU_DEP_1) | instskip(NEXT) | instid1(SALU_CYCLE_1)
	s_and_b32 s26, s7, s10
	s_xor_b32 s26, s26, -1
	s_cbranch_vccnz .LBB6_1351
; %bb.1346:                             ;   in Loop: Header=BB6_1033 Depth=2
	v_mov_b32_e32 v11, v15
	s_and_saveexec_b32 s27, s26
	s_cbranch_execz .LBB6_1350
; %bb.1347:                             ;   in Loop: Header=BB6_1033 Depth=2
	v_mov_b32_e32 v11, v14
	s_or_b32 s11, s7, s10
	s_delay_alu instid0(SALU_CYCLE_1)
	s_and_saveexec_b32 s28, s11
; %bb.1348:                             ;   in Loop: Header=BB6_1033 Depth=2
	v_lshrrev_b32_e32 v11, 16, v149
	v_cmp_lt_u16_e64 vcc_lo, 0x7c00, v148
	s_delay_alu instid0(VALU_DEP_2) | instskip(NEXT) | instid1(VALU_DEP_1)
	v_cmp_gt_f16_e64 s11, v149, v11
	v_cndmask_b32_e64 v11, v11, v149, s11
	s_delay_alu instid0(VALU_DEP_3)
	s_and_b32 s11, s7, vcc_lo
	s_delay_alu instid0(VALU_DEP_1) | instid1(SALU_CYCLE_1)
	v_cndmask_b32_e64 v11, v11, 0x7fff, s11
; %bb.1349:                             ;   in Loop: Header=BB6_1033 Depth=2
	s_or_b32 exec_lo, exec_lo, s28
.LBB6_1350:                             ;   in Loop: Header=BB6_1033 Depth=2
	s_delay_alu instid0(SALU_CYCLE_1)
	s_or_b32 exec_lo, exec_lo, s27
	s_mov_b32 s11, 0
.LBB6_1351:                             ;   in Loop: Header=BB6_1033 Depth=2
	s_delay_alu instid0(SALU_CYCLE_1)
	s_and_not1_b32 vcc_lo, exec_lo, s11
	s_cbranch_vccnz .LBB6_1357
; %bb.1352:                             ;   in Loop: Header=BB6_1033 Depth=2
	v_mov_b32_e32 v11, v15
	s_and_saveexec_b32 s11, s26
	s_cbranch_execz .LBB6_1356
; %bb.1353:                             ;   in Loop: Header=BB6_1033 Depth=2
	v_mov_b32_e32 v11, v14
	s_or_b32 s10, s7, s10
	s_delay_alu instid0(SALU_CYCLE_1)
	s_and_saveexec_b32 s26, s10
; %bb.1354:                             ;   in Loop: Header=BB6_1033 Depth=2
	v_lshrrev_b32_e32 v11, 16, v149
	v_cmp_lt_u16_e64 vcc_lo, 0x7c00, v148
	s_delay_alu instid0(VALU_DEP_2) | instskip(NEXT) | instid1(VALU_DEP_2)
	v_cmp_gt_f16_e64 s10, v149, v11
	s_and_b32 s7, s7, vcc_lo
	s_delay_alu instid0(VALU_DEP_1) | instskip(NEXT) | instid1(VALU_DEP_1)
	v_cndmask_b32_e64 v11, v149, v11, s10
	v_cndmask_b32_e64 v11, v11, 0x7fff, s7
; %bb.1355:                             ;   in Loop: Header=BB6_1033 Depth=2
	s_or_b32 exec_lo, exec_lo, s26
.LBB6_1356:                             ;   in Loop: Header=BB6_1033 Depth=2
	s_delay_alu instid0(SALU_CYCLE_1)
	s_or_b32 exec_lo, exec_lo, s11
.LBB6_1357:                             ;   in Loop: Header=BB6_1033 Depth=2
	v_lshrrev_b32_e32 v148, 16, v14
	v_lshrrev_b32_e32 v150, 16, v15
	v_perm_b32 v15, v15, v14, 0x7060302
	s_mov_b32 s11, -1
	s_and_not1_b32 vcc_lo, exec_lo, s25
	v_and_b32_e32 v151, 0x7fff, v148
	v_and_b32_e32 v149, 0x7fff, v150
                                        ; implicit-def: $vgpr14
	s_delay_alu instid0(VALU_DEP_2) | instskip(NEXT) | instid1(VALU_DEP_2)
	v_cmp_lt_u16_e64 s7, 0x7c00, v151
	v_cmp_gt_u16_e64 s10, 0x7c01, v149
	s_delay_alu instid0(VALU_DEP_1) | instskip(NEXT) | instid1(SALU_CYCLE_1)
	s_and_b32 s26, s7, s10
	s_xor_b32 s26, s26, -1
	s_cbranch_vccnz .LBB6_1363
; %bb.1358:                             ;   in Loop: Header=BB6_1033 Depth=2
	v_mov_b32_e32 v14, v150
	s_and_saveexec_b32 s27, s26
	s_cbranch_execz .LBB6_1362
; %bb.1359:                             ;   in Loop: Header=BB6_1033 Depth=2
	v_mov_b32_e32 v14, v148
	s_or_b32 s11, s7, s10
	s_delay_alu instid0(SALU_CYCLE_1)
	s_and_saveexec_b32 s28, s11
; %bb.1360:                             ;   in Loop: Header=BB6_1033 Depth=2
	v_lshrrev_b32_e32 v14, 16, v15
	v_cmp_lt_u16_e64 vcc_lo, 0x7c00, v149
	s_delay_alu instid0(VALU_DEP_2) | instskip(NEXT) | instid1(VALU_DEP_1)
	v_cmp_gt_f16_e64 s11, v15, v14
	v_cndmask_b32_e64 v14, v14, v15, s11
	s_delay_alu instid0(VALU_DEP_3)
	s_and_b32 s11, s7, vcc_lo
	s_delay_alu instid0(VALU_DEP_1) | instid1(SALU_CYCLE_1)
	v_cndmask_b32_e64 v14, v14, 0x7fff, s11
; %bb.1361:                             ;   in Loop: Header=BB6_1033 Depth=2
	s_or_b32 exec_lo, exec_lo, s28
.LBB6_1362:                             ;   in Loop: Header=BB6_1033 Depth=2
	s_delay_alu instid0(SALU_CYCLE_1)
	s_or_b32 exec_lo, exec_lo, s27
	s_mov_b32 s11, 0
.LBB6_1363:                             ;   in Loop: Header=BB6_1033 Depth=2
	s_delay_alu instid0(SALU_CYCLE_1)
	s_and_not1_b32 vcc_lo, exec_lo, s11
	s_cbranch_vccnz .LBB6_1369
; %bb.1364:                             ;   in Loop: Header=BB6_1033 Depth=2
	s_and_saveexec_b32 s11, s26
	s_cbranch_execz .LBB6_1368
; %bb.1365:                             ;   in Loop: Header=BB6_1033 Depth=2
	s_or_b32 s10, s7, s10
	s_delay_alu instid0(SALU_CYCLE_1)
	s_and_saveexec_b32 s26, s10
; %bb.1366:                             ;   in Loop: Header=BB6_1033 Depth=2
	v_lshrrev_b32_e32 v14, 16, v15
	v_cmp_lt_u16_e64 vcc_lo, 0x7c00, v149
	s_delay_alu instid0(VALU_DEP_2) | instskip(NEXT) | instid1(VALU_DEP_2)
	v_cmp_gt_f16_e64 s10, v15, v14
	s_and_b32 s7, s7, vcc_lo
	s_delay_alu instid0(VALU_DEP_1) | instskip(NEXT) | instid1(VALU_DEP_1)
	v_cndmask_b32_e64 v14, v15, v14, s10
	v_cndmask_b32_e64 v148, v14, 0x7fff, s7
; %bb.1367:                             ;   in Loop: Header=BB6_1033 Depth=2
	s_or_b32 exec_lo, exec_lo, s26
	s_delay_alu instid0(VALU_DEP_1)
	v_mov_b32_e32 v150, v148
.LBB6_1368:                             ;   in Loop: Header=BB6_1033 Depth=2
	s_or_b32 exec_lo, exec_lo, s11
	s_delay_alu instid0(VALU_DEP_1)
	v_mov_b32_e32 v14, v150
.LBB6_1369:                             ;   in Loop: Header=BB6_1033 Depth=2
	v_and_b32_e32 v15, 0x7fff, v16
	v_and_b32_e32 v148, 0x7fff, v12
	v_perm_b32 v149, v12, v16, 0x5040100
	s_mov_b32 s11, -1
	s_and_not1_b32 vcc_lo, exec_lo, s25
	v_cmp_lt_u16_e64 s7, 0x7c00, v15
	v_cmp_gt_u16_e64 s10, 0x7c01, v148
                                        ; implicit-def: $vgpr15
	s_delay_alu instid0(VALU_DEP_1) | instskip(NEXT) | instid1(SALU_CYCLE_1)
	s_and_b32 s26, s7, s10
	s_xor_b32 s26, s26, -1
	s_cbranch_vccnz .LBB6_1375
; %bb.1370:                             ;   in Loop: Header=BB6_1033 Depth=2
	v_mov_b32_e32 v15, v12
	s_and_saveexec_b32 s27, s26
	s_cbranch_execz .LBB6_1374
; %bb.1371:                             ;   in Loop: Header=BB6_1033 Depth=2
	v_mov_b32_e32 v15, v16
	s_or_b32 s11, s7, s10
	s_delay_alu instid0(SALU_CYCLE_1)
	s_and_saveexec_b32 s28, s11
; %bb.1372:                             ;   in Loop: Header=BB6_1033 Depth=2
	v_lshrrev_b32_e32 v15, 16, v149
	v_cmp_lt_u16_e64 vcc_lo, 0x7c00, v148
	s_delay_alu instid0(VALU_DEP_2) | instskip(NEXT) | instid1(VALU_DEP_1)
	v_cmp_gt_f16_e64 s11, v149, v15
	v_cndmask_b32_e64 v15, v15, v149, s11
	s_delay_alu instid0(VALU_DEP_3)
	s_and_b32 s11, s7, vcc_lo
	s_delay_alu instid0(VALU_DEP_1) | instid1(SALU_CYCLE_1)
	v_cndmask_b32_e64 v15, v15, 0x7fff, s11
; %bb.1373:                             ;   in Loop: Header=BB6_1033 Depth=2
	s_or_b32 exec_lo, exec_lo, s28
.LBB6_1374:                             ;   in Loop: Header=BB6_1033 Depth=2
	s_delay_alu instid0(SALU_CYCLE_1)
	s_or_b32 exec_lo, exec_lo, s27
	s_mov_b32 s11, 0
.LBB6_1375:                             ;   in Loop: Header=BB6_1033 Depth=2
	s_delay_alu instid0(SALU_CYCLE_1)
	s_and_not1_b32 vcc_lo, exec_lo, s11
	s_cbranch_vccnz .LBB6_1381
; %bb.1376:                             ;   in Loop: Header=BB6_1033 Depth=2
	v_mov_b32_e32 v15, v12
	s_and_saveexec_b32 s11, s26
	s_cbranch_execz .LBB6_1380
; %bb.1377:                             ;   in Loop: Header=BB6_1033 Depth=2
	v_mov_b32_e32 v15, v16
	s_or_b32 s10, s7, s10
	s_delay_alu instid0(SALU_CYCLE_1)
	s_and_saveexec_b32 s26, s10
; %bb.1378:                             ;   in Loop: Header=BB6_1033 Depth=2
	v_lshrrev_b32_e32 v15, 16, v149
	v_cmp_lt_u16_e64 vcc_lo, 0x7c00, v148
	s_delay_alu instid0(VALU_DEP_2) | instskip(NEXT) | instid1(VALU_DEP_2)
	v_cmp_gt_f16_e64 s10, v149, v15
	s_and_b32 s7, s7, vcc_lo
	s_delay_alu instid0(VALU_DEP_1) | instskip(NEXT) | instid1(VALU_DEP_1)
	v_cndmask_b32_e64 v15, v149, v15, s10
	v_cndmask_b32_e64 v15, v15, 0x7fff, s7
; %bb.1379:                             ;   in Loop: Header=BB6_1033 Depth=2
	s_or_b32 exec_lo, exec_lo, s26
.LBB6_1380:                             ;   in Loop: Header=BB6_1033 Depth=2
	s_delay_alu instid0(SALU_CYCLE_1)
	s_or_b32 exec_lo, exec_lo, s11
.LBB6_1381:                             ;   in Loop: Header=BB6_1033 Depth=2
	v_mov_b32_e32 v150, v16
	v_lshrrev_b32_e32 v149, 16, v12
	s_mov_b32 s11, -1
	s_and_not1_b32 vcc_lo, exec_lo, s25
	s_delay_alu instid0(VALU_DEP_2) | instskip(NEXT) | instid1(VALU_DEP_2)
	v_lshrrev_b32_e32 v16, 16, v150
	v_and_b32_e32 v148, 0x7fff, v149
	s_delay_alu instid0(VALU_DEP_2) | instskip(NEXT) | instid1(VALU_DEP_2)
	v_and_b32_e32 v151, 0x7fff, v16
	v_cmp_gt_u16_e64 s10, 0x7c01, v148
	v_perm_b32 v150, v12, v150, 0x7060302
                                        ; implicit-def: $vgpr12
	s_delay_alu instid0(VALU_DEP_3) | instskip(NEXT) | instid1(VALU_DEP_1)
	v_cmp_lt_u16_e64 s7, 0x7c00, v151
	s_and_b32 s26, s7, s10
	s_delay_alu instid0(SALU_CYCLE_1)
	s_xor_b32 s26, s26, -1
	s_cbranch_vccnz .LBB6_1387
; %bb.1382:                             ;   in Loop: Header=BB6_1033 Depth=2
	v_mov_b32_e32 v12, v149
	s_and_saveexec_b32 s27, s26
	s_cbranch_execz .LBB6_1386
; %bb.1383:                             ;   in Loop: Header=BB6_1033 Depth=2
	v_mov_b32_e32 v12, v16
	s_or_b32 s11, s7, s10
	s_delay_alu instid0(SALU_CYCLE_1)
	s_and_saveexec_b32 s28, s11
; %bb.1384:                             ;   in Loop: Header=BB6_1033 Depth=2
	v_lshrrev_b32_e32 v12, 16, v150
	v_cmp_lt_u16_e64 vcc_lo, 0x7c00, v148
	s_delay_alu instid0(VALU_DEP_2) | instskip(NEXT) | instid1(VALU_DEP_1)
	v_cmp_gt_f16_e64 s11, v150, v12
	v_cndmask_b32_e64 v12, v12, v150, s11
	s_delay_alu instid0(VALU_DEP_3)
	s_and_b32 s11, s7, vcc_lo
	s_delay_alu instid0(VALU_DEP_1) | instid1(SALU_CYCLE_1)
	v_cndmask_b32_e64 v12, v12, 0x7fff, s11
; %bb.1385:                             ;   in Loop: Header=BB6_1033 Depth=2
	s_or_b32 exec_lo, exec_lo, s28
.LBB6_1386:                             ;   in Loop: Header=BB6_1033 Depth=2
	s_delay_alu instid0(SALU_CYCLE_1)
	s_or_b32 exec_lo, exec_lo, s27
	s_mov_b32 s11, 0
.LBB6_1387:                             ;   in Loop: Header=BB6_1033 Depth=2
	s_delay_alu instid0(SALU_CYCLE_1)
	s_and_not1_b32 vcc_lo, exec_lo, s11
	s_cbranch_vccnz .LBB6_1393
; %bb.1388:                             ;   in Loop: Header=BB6_1033 Depth=2
	s_and_saveexec_b32 s11, s26
	s_cbranch_execz .LBB6_1392
; %bb.1389:                             ;   in Loop: Header=BB6_1033 Depth=2
	s_or_b32 s10, s7, s10
	s_delay_alu instid0(SALU_CYCLE_1)
	s_and_saveexec_b32 s26, s10
; %bb.1390:                             ;   in Loop: Header=BB6_1033 Depth=2
	v_lshrrev_b32_e32 v12, 16, v150
	v_cmp_lt_u16_e64 vcc_lo, 0x7c00, v148
	s_delay_alu instid0(VALU_DEP_2) | instskip(NEXT) | instid1(VALU_DEP_2)
	v_cmp_gt_f16_e64 s10, v150, v12
	s_and_b32 s7, s7, vcc_lo
	s_delay_alu instid0(VALU_DEP_1) | instskip(NEXT) | instid1(VALU_DEP_1)
	v_cndmask_b32_e64 v12, v150, v12, s10
	v_cndmask_b32_e64 v16, v12, 0x7fff, s7
; %bb.1391:                             ;   in Loop: Header=BB6_1033 Depth=2
	s_or_b32 exec_lo, exec_lo, s26
	s_delay_alu instid0(VALU_DEP_1)
	v_mov_b32_e32 v149, v16
.LBB6_1392:                             ;   in Loop: Header=BB6_1033 Depth=2
	s_or_b32 exec_lo, exec_lo, s11
	s_delay_alu instid0(VALU_DEP_1)
	v_mov_b32_e32 v12, v149
.LBB6_1393:                             ;   in Loop: Header=BB6_1033 Depth=2
	v_and_b32_e32 v16, 0x7fff, v17
	v_and_b32_e32 v148, 0x7fff, v13
	v_perm_b32 v149, v13, v17, 0x5040100
	s_mov_b32 s11, -1
	s_and_not1_b32 vcc_lo, exec_lo, s25
	v_cmp_lt_u16_e64 s7, 0x7c00, v16
	v_cmp_gt_u16_e64 s10, 0x7c01, v148
                                        ; implicit-def: $vgpr16
	s_delay_alu instid0(VALU_DEP_1) | instskip(NEXT) | instid1(SALU_CYCLE_1)
	s_and_b32 s26, s7, s10
	s_xor_b32 s26, s26, -1
	s_cbranch_vccnz .LBB6_1399
; %bb.1394:                             ;   in Loop: Header=BB6_1033 Depth=2
	v_mov_b32_e32 v16, v13
	s_and_saveexec_b32 s27, s26
	s_cbranch_execz .LBB6_1398
; %bb.1395:                             ;   in Loop: Header=BB6_1033 Depth=2
	v_mov_b32_e32 v16, v17
	s_or_b32 s11, s7, s10
	s_delay_alu instid0(SALU_CYCLE_1)
	s_and_saveexec_b32 s28, s11
; %bb.1396:                             ;   in Loop: Header=BB6_1033 Depth=2
	v_lshrrev_b32_e32 v16, 16, v149
	v_cmp_lt_u16_e64 vcc_lo, 0x7c00, v148
	s_delay_alu instid0(VALU_DEP_2) | instskip(NEXT) | instid1(VALU_DEP_1)
	v_cmp_gt_f16_e64 s11, v149, v16
	v_cndmask_b32_e64 v16, v16, v149, s11
	s_delay_alu instid0(VALU_DEP_3)
	s_and_b32 s11, s7, vcc_lo
	s_delay_alu instid0(VALU_DEP_1) | instid1(SALU_CYCLE_1)
	v_cndmask_b32_e64 v16, v16, 0x7fff, s11
; %bb.1397:                             ;   in Loop: Header=BB6_1033 Depth=2
	s_or_b32 exec_lo, exec_lo, s28
.LBB6_1398:                             ;   in Loop: Header=BB6_1033 Depth=2
	s_delay_alu instid0(SALU_CYCLE_1)
	s_or_b32 exec_lo, exec_lo, s27
	s_mov_b32 s11, 0
.LBB6_1399:                             ;   in Loop: Header=BB6_1033 Depth=2
	s_delay_alu instid0(SALU_CYCLE_1)
	s_and_not1_b32 vcc_lo, exec_lo, s11
	s_cbranch_vccnz .LBB6_1405
; %bb.1400:                             ;   in Loop: Header=BB6_1033 Depth=2
	v_mov_b32_e32 v16, v13
	s_and_saveexec_b32 s11, s26
	s_cbranch_execz .LBB6_1404
; %bb.1401:                             ;   in Loop: Header=BB6_1033 Depth=2
	v_mov_b32_e32 v16, v17
	s_or_b32 s10, s7, s10
	s_delay_alu instid0(SALU_CYCLE_1)
	s_and_saveexec_b32 s26, s10
; %bb.1402:                             ;   in Loop: Header=BB6_1033 Depth=2
	v_lshrrev_b32_e32 v16, 16, v149
	v_cmp_lt_u16_e64 vcc_lo, 0x7c00, v148
	s_delay_alu instid0(VALU_DEP_2) | instskip(NEXT) | instid1(VALU_DEP_2)
	v_cmp_gt_f16_e64 s10, v149, v16
	s_and_b32 s7, s7, vcc_lo
	s_delay_alu instid0(VALU_DEP_1) | instskip(NEXT) | instid1(VALU_DEP_1)
	v_cndmask_b32_e64 v16, v149, v16, s10
	v_cndmask_b32_e64 v16, v16, 0x7fff, s7
; %bb.1403:                             ;   in Loop: Header=BB6_1033 Depth=2
	s_or_b32 exec_lo, exec_lo, s26
.LBB6_1404:                             ;   in Loop: Header=BB6_1033 Depth=2
	s_delay_alu instid0(SALU_CYCLE_1)
	s_or_b32 exec_lo, exec_lo, s11
.LBB6_1405:                             ;   in Loop: Header=BB6_1033 Depth=2
	v_lshrrev_b32_e32 v148, 16, v17
	v_lshrrev_b32_e32 v150, 16, v13
	v_perm_b32 v17, v13, v17, 0x7060302
	s_mov_b32 s11, -1
	s_and_not1_b32 vcc_lo, exec_lo, s25
	v_and_b32_e32 v151, 0x7fff, v148
	v_and_b32_e32 v149, 0x7fff, v150
                                        ; implicit-def: $vgpr13
	s_delay_alu instid0(VALU_DEP_2) | instskip(NEXT) | instid1(VALU_DEP_2)
	v_cmp_lt_u16_e64 s7, 0x7c00, v151
	v_cmp_gt_u16_e64 s10, 0x7c01, v149
	s_delay_alu instid0(VALU_DEP_1) | instskip(NEXT) | instid1(SALU_CYCLE_1)
	s_and_b32 s26, s7, s10
	s_xor_b32 s26, s26, -1
	s_cbranch_vccnz .LBB6_1411
; %bb.1406:                             ;   in Loop: Header=BB6_1033 Depth=2
	v_mov_b32_e32 v13, v150
	s_and_saveexec_b32 s27, s26
	s_cbranch_execz .LBB6_1410
; %bb.1407:                             ;   in Loop: Header=BB6_1033 Depth=2
	v_mov_b32_e32 v13, v148
	s_or_b32 s11, s7, s10
	s_delay_alu instid0(SALU_CYCLE_1)
	s_and_saveexec_b32 s28, s11
; %bb.1408:                             ;   in Loop: Header=BB6_1033 Depth=2
	v_lshrrev_b32_e32 v13, 16, v17
	v_cmp_lt_u16_e64 vcc_lo, 0x7c00, v149
	s_delay_alu instid0(VALU_DEP_2) | instskip(NEXT) | instid1(VALU_DEP_1)
	v_cmp_gt_f16_e64 s11, v17, v13
	v_cndmask_b32_e64 v13, v13, v17, s11
	s_delay_alu instid0(VALU_DEP_3)
	s_and_b32 s11, s7, vcc_lo
	s_delay_alu instid0(VALU_DEP_1) | instid1(SALU_CYCLE_1)
	v_cndmask_b32_e64 v13, v13, 0x7fff, s11
; %bb.1409:                             ;   in Loop: Header=BB6_1033 Depth=2
	s_or_b32 exec_lo, exec_lo, s28
.LBB6_1410:                             ;   in Loop: Header=BB6_1033 Depth=2
	s_delay_alu instid0(SALU_CYCLE_1)
	s_or_b32 exec_lo, exec_lo, s27
	s_mov_b32 s11, 0
.LBB6_1411:                             ;   in Loop: Header=BB6_1033 Depth=2
	s_delay_alu instid0(SALU_CYCLE_1)
	s_and_not1_b32 vcc_lo, exec_lo, s11
	s_cbranch_vccnz .LBB6_1032
; %bb.1412:                             ;   in Loop: Header=BB6_1033 Depth=2
	s_and_saveexec_b32 s11, s26
	s_cbranch_execz .LBB6_1031
; %bb.1413:                             ;   in Loop: Header=BB6_1033 Depth=2
	s_or_b32 s10, s7, s10
	s_delay_alu instid0(SALU_CYCLE_1)
	s_and_saveexec_b32 s26, s10
	s_cbranch_execz .LBB6_1030
; %bb.1414:                             ;   in Loop: Header=BB6_1033 Depth=2
	v_lshrrev_b32_e32 v13, 16, v17
	v_cmp_lt_u16_e64 vcc_lo, 0x7c00, v149
	s_delay_alu instid0(VALU_DEP_2) | instskip(NEXT) | instid1(VALU_DEP_2)
	v_cmp_gt_f16_e64 s10, v17, v13
	s_and_b32 s7, s7, vcc_lo
	s_delay_alu instid0(VALU_DEP_1) | instskip(NEXT) | instid1(VALU_DEP_1)
	v_cndmask_b32_e64 v13, v17, v13, s10
	v_cndmask_b32_e64 v148, v13, 0x7fff, s7
	s_branch .LBB6_1030
.LBB6_1415:                             ;   in Loop: Header=BB6_945 Depth=1
	s_or_b32 exec_lo, exec_lo, s24
.LBB6_1416:                             ;   in Loop: Header=BB6_945 Depth=1
	s_delay_alu instid0(SALU_CYCLE_1) | instskip(SKIP_4) | instid1(VALU_DEP_2)
	s_or_b32 exec_lo, exec_lo, s12
	v_lshlrev_b32_e32 v24, 11, v146
	v_mov_b32_e32 v16, 0
	s_mov_b32 s7, 0
	s_mov_b32 s24, exec_lo
                                        ; implicit-def: $vgpr17
                                        ; implicit-def: $vgpr10
	v_cmpx_ne_u32_e64 v144, v24
	s_cbranch_execz .LBB6_1521
; %bb.1417:                             ;   in Loop: Header=BB6_945 Depth=1
	v_lshlrev_b32_e32 v10, 5, v145
	v_sub_nc_u32_e32 v12, v144, v24
	s_mov_b32 s25, exec_lo
	s_delay_alu instid0(VALU_DEP_2) | instskip(NEXT) | instid1(VALU_DEP_2)
	v_sub_nc_u32_e32 v10, v113, v10
	v_ashrrev_i32_e32 v13, 31, v12
	s_delay_alu instid0(VALU_DEP_2) | instskip(NEXT) | instid1(VALU_DEP_2)
	v_ashrrev_i32_e32 v11, 31, v10
	v_lshrrev_b32_e32 v13, 23, v13
	s_delay_alu instid0(VALU_DEP_2) | instskip(NEXT) | instid1(VALU_DEP_2)
	v_lshrrev_b32_e32 v11, 27, v11
	v_add_nc_u32_e32 v13, v12, v13
	s_delay_alu instid0(VALU_DEP_2) | instskip(NEXT) | instid1(VALU_DEP_2)
	v_add_nc_u32_e32 v11, v10, v11
	v_and_b32_e32 v25, 0xfffffe00, v13
	v_ashrrev_i32_e32 v13, 9, v13
	s_delay_alu instid0(VALU_DEP_3) | instskip(NEXT) | instid1(VALU_DEP_3)
	v_and_b32_e32 v14, 0xffffffe0, v11
	v_sub_nc_u32_e32 v27, v12, v25
	v_ashrrev_i32_e32 v11, 5, v11
	s_delay_alu instid0(VALU_DEP_3) | instskip(NEXT) | instid1(VALU_DEP_3)
	v_sub_nc_u32_e32 v26, v10, v14
	v_cmp_lt_i32_e64 s7, 15, v27
	s_delay_alu instid0(VALU_DEP_2) | instskip(NEXT) | instid1(VALU_DEP_2)
	v_lshlrev_b32_e32 v10, 4, v26
	v_add_co_ci_u32_e64 v13, vcc_lo, 0, v13, s7
	s_delay_alu instid0(VALU_DEP_2) | instskip(NEXT) | instid1(VALU_DEP_2)
	v_lshl_add_u32 v10, v11, 9, v10
	v_sub_nc_u32_e32 v28, v13, v11
	s_delay_alu instid0(VALU_DEP_2) | instskip(NEXT) | instid1(VALU_DEP_1)
	v_sub_nc_u32_e32 v29, v12, v10
	v_cmpx_lt_i32_e32 15, v29
	s_cbranch_execz .LBB6_1518
; %bb.1418:                             ;   in Loop: Header=BB6_945 Depth=1
	s_cbranch_execnz .LBB6_2282
; %bb.1419:                             ;   in Loop: Header=BB6_945 Depth=1
	ds_load_b128 v[11:14], v0
	ds_load_b64 v[15:16], v0
	v_add_nc_u32_e32 v10, v10, v24
	s_bitcmp1_b32 s23, 0
	s_mov_b32 s26, 0
	s_cselect_b32 s27, -1, 0
	s_delay_alu instid0(VALU_DEP_1) | instskip(SKIP_2) | instid1(VALU_DEP_2)
	v_ashrrev_i32_e32 v17, 31, v10
	s_waitcnt lgkmcnt(1)
	v_add_co_u32 v18, vcc_lo, v11, v10
	v_add_co_ci_u32_e32 v19, vcc_lo, v12, v17, vcc_lo
	v_add_co_u32 v20, vcc_lo, v13, v10
	v_add_co_ci_u32_e32 v21, vcc_lo, v14, v17, vcc_lo
	s_waitcnt lgkmcnt(0)
	v_add_co_u32 v22, vcc_lo, v15, v10
	v_add_co_ci_u32_e32 v23, vcc_lo, v16, v17, vcc_lo
	s_branch .LBB6_1423
.LBB6_1420:                             ;   in Loop: Header=BB6_1423 Depth=2
	s_or_b32 exec_lo, exec_lo, s28
	s_delay_alu instid0(VALU_DEP_1)
	v_mov_b32_e32 v35, v33
.LBB6_1421:                             ;   in Loop: Header=BB6_1423 Depth=2
	s_or_b32 exec_lo, exec_lo, s12
	s_delay_alu instid0(VALU_DEP_1)
	v_mov_b32_e32 v17, v35
.LBB6_1422:                             ;   in Loop: Header=BB6_1423 Depth=2
	v_lshlrev_b32_e32 v10, 16, v10
	v_and_b32_e32 v13, 0xffff, v32
	v_lshlrev_b32_e32 v16, 16, v16
	v_and_b32_e32 v15, 0xffff, v15
	;; [unrolled: 2-line block ×3, first 2 shown]
	v_or_b32_e32 v10, v10, v13
	v_lshlrev_b32_e32 v13, 16, v17
	v_and_b32_e32 v12, 0xffff, v12
	v_or_b32_e32 v15, v16, v15
	v_add_co_u32 v18, vcc_lo, v18, v119
	v_or3_b32 v11, v14, v11, 0
	v_or3_b32 v10, 0, 0, v10
	;; [unrolled: 1-line block ×4, first 2 shown]
	v_sub_nc_u32_e32 v29, v29, v101
	v_add_co_ci_u32_e32 v19, vcc_lo, v19, v128, vcc_lo
	v_add_co_u32 v20, vcc_lo, v20, v119
	v_add_co_ci_u32_e32 v21, vcc_lo, v21, v128, vcc_lo
	global_store_b128 v[22:23], v[10:13], off glc slc dlc
	v_cmp_gt_i32_e32 vcc_lo, 16, v29
	v_add_co_u32 v22, s10, v22, v119
	s_delay_alu instid0(VALU_DEP_1) | instskip(SKIP_2) | instid1(SALU_CYCLE_1)
	v_add_co_ci_u32_e64 v23, s10, v23, v128, s10
	v_sub_nc_u32_e32 v28, v28, v87
	s_or_b32 s26, vcc_lo, s26
	s_and_not1_b32 exec_lo, exec_lo, s26
	s_cbranch_execz .LBB6_1517
.LBB6_1423:                             ;   Parent Loop BB6_945 Depth=1
                                        ; =>  This Inner Loop Header: Depth=2
	global_load_b128 v[14:17], v[18:19], off slc dlc
	global_load_b128 v[10:13], v[20:21], off slc dlc
	s_mov_b32 s12, -1
	s_and_b32 vcc_lo, exec_lo, s27
	s_waitcnt vmcnt(1)
	v_and_b32_e32 v32, 0x7fff, v14
	s_waitcnt vmcnt(0)
	v_and_b32_e32 v33, 0x7fff, v10
	v_perm_b32 v34, v10, v14, 0x5040100
	s_delay_alu instid0(VALU_DEP_3) | instskip(NEXT) | instid1(VALU_DEP_3)
	v_cmp_lt_u16_e64 s10, 0x7c00, v32
	v_cmp_gt_u16_e64 s11, 0x7c01, v33
                                        ; implicit-def: $vgpr32
	s_delay_alu instid0(VALU_DEP_1) | instskip(NEXT) | instid1(SALU_CYCLE_1)
	s_and_b32 s28, s10, s11
	s_xor_b32 s28, s28, -1
	s_cbranch_vccz .LBB6_1429
; %bb.1424:                             ;   in Loop: Header=BB6_1423 Depth=2
	v_mov_b32_e32 v32, v10
	s_and_saveexec_b32 s29, s28
	s_cbranch_execz .LBB6_1428
; %bb.1425:                             ;   in Loop: Header=BB6_1423 Depth=2
	v_mov_b32_e32 v32, v14
	s_or_b32 s12, s10, s11
	s_delay_alu instid0(SALU_CYCLE_1)
	s_and_saveexec_b32 vcc_hi, s12
; %bb.1426:                             ;   in Loop: Header=BB6_1423 Depth=2
	v_lshrrev_b32_e32 v32, 16, v34
	v_cmp_lt_u16_e32 vcc_lo, 0x7c00, v33
	s_delay_alu instid0(VALU_DEP_2) | instskip(NEXT) | instid1(VALU_DEP_1)
	v_cmp_gt_f16_e64 s12, v34, v32
	v_cndmask_b32_e64 v32, v32, v34, s12
	s_and_b32 s12, s10, vcc_lo
	s_delay_alu instid0(VALU_DEP_1) | instid1(SALU_CYCLE_1)
	v_cndmask_b32_e64 v32, v32, 0x7fff, s12
; %bb.1427:                             ;   in Loop: Header=BB6_1423 Depth=2
	s_or_b32 exec_lo, exec_lo, vcc_hi
.LBB6_1428:                             ;   in Loop: Header=BB6_1423 Depth=2
	s_delay_alu instid0(SALU_CYCLE_1)
	s_or_b32 exec_lo, exec_lo, s29
	s_mov_b32 s12, 0
.LBB6_1429:                             ;   in Loop: Header=BB6_1423 Depth=2
	s_delay_alu instid0(SALU_CYCLE_1)
	s_and_not1_b32 vcc_lo, exec_lo, s12
	s_cbranch_vccnz .LBB6_1435
; %bb.1430:                             ;   in Loop: Header=BB6_1423 Depth=2
	v_mov_b32_e32 v32, v10
	s_and_saveexec_b32 s12, s28
	s_cbranch_execz .LBB6_1434
; %bb.1431:                             ;   in Loop: Header=BB6_1423 Depth=2
	v_mov_b32_e32 v32, v14
	s_or_b32 s11, s10, s11
	s_delay_alu instid0(SALU_CYCLE_1)
	s_and_saveexec_b32 s28, s11
; %bb.1432:                             ;   in Loop: Header=BB6_1423 Depth=2
	v_lshrrev_b32_e32 v32, 16, v34
	v_cmp_lt_u16_e32 vcc_lo, 0x7c00, v33
	s_delay_alu instid0(VALU_DEP_2) | instskip(SKIP_1) | instid1(VALU_DEP_1)
	v_cmp_gt_f16_e64 s11, v34, v32
	s_and_b32 s10, s10, vcc_lo
	v_cndmask_b32_e64 v32, v34, v32, s11
	s_delay_alu instid0(VALU_DEP_1)
	v_cndmask_b32_e64 v32, v32, 0x7fff, s10
; %bb.1433:                             ;   in Loop: Header=BB6_1423 Depth=2
	s_or_b32 exec_lo, exec_lo, s28
.LBB6_1434:                             ;   in Loop: Header=BB6_1423 Depth=2
	s_delay_alu instid0(SALU_CYCLE_1)
	s_or_b32 exec_lo, exec_lo, s12
.LBB6_1435:                             ;   in Loop: Header=BB6_1423 Depth=2
	v_mov_b32_e32 v36, v14
	v_mov_b32_e32 v14, v15
	;; [unrolled: 1-line block ×3, first 2 shown]
	s_mov_b32 s12, -1
	s_and_b32 vcc_lo, exec_lo, s27
	v_lshrrev_b32_e32 v33, 16, v36
	s_delay_alu instid0(VALU_DEP_1) | instskip(NEXT) | instid1(VALU_DEP_1)
	v_dual_mov_b32 v37, v10 :: v_dual_and_b32 v10, 0x7fff, v33
	v_lshrrev_b32_e32 v35, 16, v37
	v_perm_b32 v11, v37, v36, 0x7060302
	s_delay_alu instid0(VALU_DEP_3) | instskip(NEXT) | instid1(VALU_DEP_3)
	v_cmp_lt_u16_e64 s10, 0x7c00, v10
	v_and_b32_e32 v34, 0x7fff, v35
                                        ; implicit-def: $vgpr10
	s_delay_alu instid0(VALU_DEP_1) | instskip(NEXT) | instid1(VALU_DEP_1)
	v_cmp_gt_u16_e64 s11, 0x7c01, v34
	s_and_b32 s28, s10, s11
	s_delay_alu instid0(SALU_CYCLE_1)
	s_xor_b32 s28, s28, -1
	s_cbranch_vccz .LBB6_1441
; %bb.1436:                             ;   in Loop: Header=BB6_1423 Depth=2
	v_mov_b32_e32 v10, v35
	s_and_saveexec_b32 s29, s28
	s_cbranch_execz .LBB6_1440
; %bb.1437:                             ;   in Loop: Header=BB6_1423 Depth=2
	v_mov_b32_e32 v10, v33
	s_or_b32 s12, s10, s11
	s_delay_alu instid0(SALU_CYCLE_1)
	s_and_saveexec_b32 vcc_hi, s12
; %bb.1438:                             ;   in Loop: Header=BB6_1423 Depth=2
	v_lshrrev_b32_e32 v10, 16, v11
	v_cmp_lt_u16_e32 vcc_lo, 0x7c00, v34
	s_delay_alu instid0(VALU_DEP_2) | instskip(NEXT) | instid1(VALU_DEP_1)
	v_cmp_gt_f16_e64 s12, v11, v10
	v_cndmask_b32_e64 v10, v10, v11, s12
	s_and_b32 s12, s10, vcc_lo
	s_delay_alu instid0(VALU_DEP_1) | instid1(SALU_CYCLE_1)
	v_cndmask_b32_e64 v10, v10, 0x7fff, s12
; %bb.1439:                             ;   in Loop: Header=BB6_1423 Depth=2
	s_or_b32 exec_lo, exec_lo, vcc_hi
.LBB6_1440:                             ;   in Loop: Header=BB6_1423 Depth=2
	s_delay_alu instid0(SALU_CYCLE_1)
	s_or_b32 exec_lo, exec_lo, s29
	s_mov_b32 s12, 0
.LBB6_1441:                             ;   in Loop: Header=BB6_1423 Depth=2
	s_delay_alu instid0(SALU_CYCLE_1)
	s_and_not1_b32 vcc_lo, exec_lo, s12
	s_cbranch_vccnz .LBB6_1447
; %bb.1442:                             ;   in Loop: Header=BB6_1423 Depth=2
	s_and_saveexec_b32 s12, s28
	s_cbranch_execz .LBB6_1446
; %bb.1443:                             ;   in Loop: Header=BB6_1423 Depth=2
	s_or_b32 s11, s10, s11
	s_delay_alu instid0(SALU_CYCLE_1)
	s_and_saveexec_b32 s28, s11
; %bb.1444:                             ;   in Loop: Header=BB6_1423 Depth=2
	v_lshrrev_b32_e32 v10, 16, v11
	v_cmp_lt_u16_e32 vcc_lo, 0x7c00, v34
	s_delay_alu instid0(VALU_DEP_2) | instskip(SKIP_1) | instid1(VALU_DEP_1)
	v_cmp_gt_f16_e64 s11, v11, v10
	s_and_b32 s10, s10, vcc_lo
	v_cndmask_b32_e64 v10, v11, v10, s11
	s_delay_alu instid0(VALU_DEP_1)
	v_cndmask_b32_e64 v33, v10, 0x7fff, s10
; %bb.1445:                             ;   in Loop: Header=BB6_1423 Depth=2
	s_or_b32 exec_lo, exec_lo, s28
	s_delay_alu instid0(VALU_DEP_1)
	v_mov_b32_e32 v35, v33
.LBB6_1446:                             ;   in Loop: Header=BB6_1423 Depth=2
	s_or_b32 exec_lo, exec_lo, s12
	s_delay_alu instid0(VALU_DEP_1)
	v_mov_b32_e32 v10, v35
.LBB6_1447:                             ;   in Loop: Header=BB6_1423 Depth=2
	v_and_b32_e32 v11, 0x7fff, v14
	v_and_b32_e32 v33, 0x7fff, v15
	v_perm_b32 v34, v15, v14, 0x5040100
	s_mov_b32 s12, -1
	s_and_b32 vcc_lo, exec_lo, s27
	v_cmp_lt_u16_e64 s10, 0x7c00, v11
	v_cmp_gt_u16_e64 s11, 0x7c01, v33
                                        ; implicit-def: $vgpr11
	s_delay_alu instid0(VALU_DEP_1) | instskip(NEXT) | instid1(SALU_CYCLE_1)
	s_and_b32 s28, s10, s11
	s_xor_b32 s28, s28, -1
	s_cbranch_vccz .LBB6_1453
; %bb.1448:                             ;   in Loop: Header=BB6_1423 Depth=2
	v_mov_b32_e32 v11, v15
	s_and_saveexec_b32 s29, s28
	s_cbranch_execz .LBB6_1452
; %bb.1449:                             ;   in Loop: Header=BB6_1423 Depth=2
	v_mov_b32_e32 v11, v14
	s_or_b32 s12, s10, s11
	s_delay_alu instid0(SALU_CYCLE_1)
	s_and_saveexec_b32 vcc_hi, s12
; %bb.1450:                             ;   in Loop: Header=BB6_1423 Depth=2
	v_lshrrev_b32_e32 v11, 16, v34
	v_cmp_lt_u16_e32 vcc_lo, 0x7c00, v33
	s_delay_alu instid0(VALU_DEP_2) | instskip(NEXT) | instid1(VALU_DEP_1)
	v_cmp_gt_f16_e64 s12, v34, v11
	v_cndmask_b32_e64 v11, v11, v34, s12
	s_and_b32 s12, s10, vcc_lo
	s_delay_alu instid0(VALU_DEP_1) | instid1(SALU_CYCLE_1)
	v_cndmask_b32_e64 v11, v11, 0x7fff, s12
; %bb.1451:                             ;   in Loop: Header=BB6_1423 Depth=2
	s_or_b32 exec_lo, exec_lo, vcc_hi
.LBB6_1452:                             ;   in Loop: Header=BB6_1423 Depth=2
	s_delay_alu instid0(SALU_CYCLE_1)
	s_or_b32 exec_lo, exec_lo, s29
	s_mov_b32 s12, 0
.LBB6_1453:                             ;   in Loop: Header=BB6_1423 Depth=2
	s_delay_alu instid0(SALU_CYCLE_1)
	s_and_not1_b32 vcc_lo, exec_lo, s12
	s_cbranch_vccnz .LBB6_1459
; %bb.1454:                             ;   in Loop: Header=BB6_1423 Depth=2
	v_mov_b32_e32 v11, v15
	s_and_saveexec_b32 s12, s28
	s_cbranch_execz .LBB6_1458
; %bb.1455:                             ;   in Loop: Header=BB6_1423 Depth=2
	v_mov_b32_e32 v11, v14
	s_or_b32 s11, s10, s11
	s_delay_alu instid0(SALU_CYCLE_1)
	s_and_saveexec_b32 s28, s11
; %bb.1456:                             ;   in Loop: Header=BB6_1423 Depth=2
	v_lshrrev_b32_e32 v11, 16, v34
	v_cmp_lt_u16_e32 vcc_lo, 0x7c00, v33
	s_delay_alu instid0(VALU_DEP_2) | instskip(SKIP_1) | instid1(VALU_DEP_1)
	v_cmp_gt_f16_e64 s11, v34, v11
	s_and_b32 s10, s10, vcc_lo
	v_cndmask_b32_e64 v11, v34, v11, s11
	s_delay_alu instid0(VALU_DEP_1)
	v_cndmask_b32_e64 v11, v11, 0x7fff, s10
; %bb.1457:                             ;   in Loop: Header=BB6_1423 Depth=2
	s_or_b32 exec_lo, exec_lo, s28
.LBB6_1458:                             ;   in Loop: Header=BB6_1423 Depth=2
	s_delay_alu instid0(SALU_CYCLE_1)
	s_or_b32 exec_lo, exec_lo, s12
.LBB6_1459:                             ;   in Loop: Header=BB6_1423 Depth=2
	v_lshrrev_b32_e32 v33, 16, v14
	v_lshrrev_b32_e32 v35, 16, v15
	v_perm_b32 v15, v15, v14, 0x7060302
	s_mov_b32 s12, -1
	s_and_b32 vcc_lo, exec_lo, s27
	v_and_b32_e32 v36, 0x7fff, v33
	v_and_b32_e32 v34, 0x7fff, v35
                                        ; implicit-def: $vgpr14
	s_delay_alu instid0(VALU_DEP_2) | instskip(NEXT) | instid1(VALU_DEP_2)
	v_cmp_lt_u16_e64 s10, 0x7c00, v36
	v_cmp_gt_u16_e64 s11, 0x7c01, v34
	s_delay_alu instid0(VALU_DEP_1) | instskip(NEXT) | instid1(SALU_CYCLE_1)
	s_and_b32 s28, s10, s11
	s_xor_b32 s28, s28, -1
	s_cbranch_vccz .LBB6_1465
; %bb.1460:                             ;   in Loop: Header=BB6_1423 Depth=2
	v_mov_b32_e32 v14, v35
	s_and_saveexec_b32 s29, s28
	s_cbranch_execz .LBB6_1464
; %bb.1461:                             ;   in Loop: Header=BB6_1423 Depth=2
	v_mov_b32_e32 v14, v33
	s_or_b32 s12, s10, s11
	s_delay_alu instid0(SALU_CYCLE_1)
	s_and_saveexec_b32 vcc_hi, s12
; %bb.1462:                             ;   in Loop: Header=BB6_1423 Depth=2
	v_lshrrev_b32_e32 v14, 16, v15
	v_cmp_lt_u16_e32 vcc_lo, 0x7c00, v34
	s_delay_alu instid0(VALU_DEP_2) | instskip(NEXT) | instid1(VALU_DEP_1)
	v_cmp_gt_f16_e64 s12, v15, v14
	v_cndmask_b32_e64 v14, v14, v15, s12
	s_and_b32 s12, s10, vcc_lo
	s_delay_alu instid0(VALU_DEP_1) | instid1(SALU_CYCLE_1)
	v_cndmask_b32_e64 v14, v14, 0x7fff, s12
; %bb.1463:                             ;   in Loop: Header=BB6_1423 Depth=2
	s_or_b32 exec_lo, exec_lo, vcc_hi
.LBB6_1464:                             ;   in Loop: Header=BB6_1423 Depth=2
	s_delay_alu instid0(SALU_CYCLE_1)
	s_or_b32 exec_lo, exec_lo, s29
	s_mov_b32 s12, 0
.LBB6_1465:                             ;   in Loop: Header=BB6_1423 Depth=2
	s_delay_alu instid0(SALU_CYCLE_1)
	s_and_not1_b32 vcc_lo, exec_lo, s12
	s_cbranch_vccnz .LBB6_1471
; %bb.1466:                             ;   in Loop: Header=BB6_1423 Depth=2
	s_and_saveexec_b32 s12, s28
	s_cbranch_execz .LBB6_1470
; %bb.1467:                             ;   in Loop: Header=BB6_1423 Depth=2
	s_or_b32 s11, s10, s11
	s_delay_alu instid0(SALU_CYCLE_1)
	s_and_saveexec_b32 s28, s11
; %bb.1468:                             ;   in Loop: Header=BB6_1423 Depth=2
	v_lshrrev_b32_e32 v14, 16, v15
	v_cmp_lt_u16_e32 vcc_lo, 0x7c00, v34
	s_delay_alu instid0(VALU_DEP_2) | instskip(SKIP_1) | instid1(VALU_DEP_1)
	v_cmp_gt_f16_e64 s11, v15, v14
	s_and_b32 s10, s10, vcc_lo
	v_cndmask_b32_e64 v14, v15, v14, s11
	s_delay_alu instid0(VALU_DEP_1)
	v_cndmask_b32_e64 v33, v14, 0x7fff, s10
; %bb.1469:                             ;   in Loop: Header=BB6_1423 Depth=2
	s_or_b32 exec_lo, exec_lo, s28
	s_delay_alu instid0(VALU_DEP_1)
	v_mov_b32_e32 v35, v33
.LBB6_1470:                             ;   in Loop: Header=BB6_1423 Depth=2
	s_or_b32 exec_lo, exec_lo, s12
	s_delay_alu instid0(VALU_DEP_1)
	v_mov_b32_e32 v14, v35
.LBB6_1471:                             ;   in Loop: Header=BB6_1423 Depth=2
	v_and_b32_e32 v15, 0x7fff, v16
	v_and_b32_e32 v33, 0x7fff, v12
	v_perm_b32 v34, v12, v16, 0x5040100
	s_mov_b32 s12, -1
	s_and_b32 vcc_lo, exec_lo, s27
	v_cmp_lt_u16_e64 s10, 0x7c00, v15
	v_cmp_gt_u16_e64 s11, 0x7c01, v33
                                        ; implicit-def: $vgpr15
	s_delay_alu instid0(VALU_DEP_1) | instskip(NEXT) | instid1(SALU_CYCLE_1)
	s_and_b32 s28, s10, s11
	s_xor_b32 s28, s28, -1
	s_cbranch_vccz .LBB6_1477
; %bb.1472:                             ;   in Loop: Header=BB6_1423 Depth=2
	v_mov_b32_e32 v15, v12
	s_and_saveexec_b32 s29, s28
	s_cbranch_execz .LBB6_1476
; %bb.1473:                             ;   in Loop: Header=BB6_1423 Depth=2
	v_mov_b32_e32 v15, v16
	s_or_b32 s12, s10, s11
	s_delay_alu instid0(SALU_CYCLE_1)
	s_and_saveexec_b32 vcc_hi, s12
; %bb.1474:                             ;   in Loop: Header=BB6_1423 Depth=2
	v_lshrrev_b32_e32 v15, 16, v34
	v_cmp_lt_u16_e32 vcc_lo, 0x7c00, v33
	s_delay_alu instid0(VALU_DEP_2) | instskip(NEXT) | instid1(VALU_DEP_1)
	v_cmp_gt_f16_e64 s12, v34, v15
	v_cndmask_b32_e64 v15, v15, v34, s12
	s_and_b32 s12, s10, vcc_lo
	s_delay_alu instid0(VALU_DEP_1) | instid1(SALU_CYCLE_1)
	v_cndmask_b32_e64 v15, v15, 0x7fff, s12
; %bb.1475:                             ;   in Loop: Header=BB6_1423 Depth=2
	s_or_b32 exec_lo, exec_lo, vcc_hi
.LBB6_1476:                             ;   in Loop: Header=BB6_1423 Depth=2
	s_delay_alu instid0(SALU_CYCLE_1)
	s_or_b32 exec_lo, exec_lo, s29
	s_mov_b32 s12, 0
.LBB6_1477:                             ;   in Loop: Header=BB6_1423 Depth=2
	s_delay_alu instid0(SALU_CYCLE_1)
	s_and_not1_b32 vcc_lo, exec_lo, s12
	s_cbranch_vccnz .LBB6_1483
; %bb.1478:                             ;   in Loop: Header=BB6_1423 Depth=2
	v_mov_b32_e32 v15, v12
	s_and_saveexec_b32 s12, s28
	s_cbranch_execz .LBB6_1482
; %bb.1479:                             ;   in Loop: Header=BB6_1423 Depth=2
	v_mov_b32_e32 v15, v16
	s_or_b32 s11, s10, s11
	s_delay_alu instid0(SALU_CYCLE_1)
	s_and_saveexec_b32 s28, s11
; %bb.1480:                             ;   in Loop: Header=BB6_1423 Depth=2
	v_lshrrev_b32_e32 v15, 16, v34
	v_cmp_lt_u16_e32 vcc_lo, 0x7c00, v33
	s_delay_alu instid0(VALU_DEP_2) | instskip(SKIP_1) | instid1(VALU_DEP_1)
	v_cmp_gt_f16_e64 s11, v34, v15
	s_and_b32 s10, s10, vcc_lo
	v_cndmask_b32_e64 v15, v34, v15, s11
	s_delay_alu instid0(VALU_DEP_1)
	v_cndmask_b32_e64 v15, v15, 0x7fff, s10
; %bb.1481:                             ;   in Loop: Header=BB6_1423 Depth=2
	s_or_b32 exec_lo, exec_lo, s28
.LBB6_1482:                             ;   in Loop: Header=BB6_1423 Depth=2
	s_delay_alu instid0(SALU_CYCLE_1)
	s_or_b32 exec_lo, exec_lo, s12
.LBB6_1483:                             ;   in Loop: Header=BB6_1423 Depth=2
	v_mov_b32_e32 v36, v16
	v_lshrrev_b32_e32 v35, 16, v12
	s_mov_b32 s12, -1
	s_and_b32 vcc_lo, exec_lo, s27
	s_delay_alu instid0(VALU_DEP_2) | instskip(NEXT) | instid1(VALU_DEP_2)
	v_lshrrev_b32_e32 v33, 16, v36
	v_and_b32_e32 v34, 0x7fff, v35
	v_perm_b32 v12, v12, v36, 0x7060302
	s_delay_alu instid0(VALU_DEP_3) | instskip(NEXT) | instid1(VALU_DEP_3)
	v_and_b32_e32 v16, 0x7fff, v33
	v_cmp_gt_u16_e64 s11, 0x7c01, v34
	s_delay_alu instid0(VALU_DEP_2) | instskip(NEXT) | instid1(VALU_DEP_1)
	v_cmp_lt_u16_e64 s10, 0x7c00, v16
                                        ; implicit-def: $vgpr16
	s_and_b32 s28, s10, s11
	s_delay_alu instid0(SALU_CYCLE_1)
	s_xor_b32 s28, s28, -1
	s_cbranch_vccz .LBB6_1489
; %bb.1484:                             ;   in Loop: Header=BB6_1423 Depth=2
	v_mov_b32_e32 v16, v35
	s_and_saveexec_b32 s29, s28
	s_cbranch_execz .LBB6_1488
; %bb.1485:                             ;   in Loop: Header=BB6_1423 Depth=2
	v_mov_b32_e32 v16, v33
	s_or_b32 s12, s10, s11
	s_delay_alu instid0(SALU_CYCLE_1)
	s_and_saveexec_b32 vcc_hi, s12
; %bb.1486:                             ;   in Loop: Header=BB6_1423 Depth=2
	v_lshrrev_b32_e32 v16, 16, v12
	v_cmp_lt_u16_e32 vcc_lo, 0x7c00, v34
	s_delay_alu instid0(VALU_DEP_2) | instskip(NEXT) | instid1(VALU_DEP_1)
	v_cmp_gt_f16_e64 s12, v12, v16
	v_cndmask_b32_e64 v16, v16, v12, s12
	s_and_b32 s12, s10, vcc_lo
	s_delay_alu instid0(VALU_DEP_1) | instid1(SALU_CYCLE_1)
	v_cndmask_b32_e64 v16, v16, 0x7fff, s12
; %bb.1487:                             ;   in Loop: Header=BB6_1423 Depth=2
	s_or_b32 exec_lo, exec_lo, vcc_hi
.LBB6_1488:                             ;   in Loop: Header=BB6_1423 Depth=2
	s_delay_alu instid0(SALU_CYCLE_1)
	s_or_b32 exec_lo, exec_lo, s29
	s_mov_b32 s12, 0
.LBB6_1489:                             ;   in Loop: Header=BB6_1423 Depth=2
	s_delay_alu instid0(SALU_CYCLE_1)
	s_and_not1_b32 vcc_lo, exec_lo, s12
	s_cbranch_vccnz .LBB6_1495
; %bb.1490:                             ;   in Loop: Header=BB6_1423 Depth=2
	s_and_saveexec_b32 s12, s28
	s_cbranch_execz .LBB6_1494
; %bb.1491:                             ;   in Loop: Header=BB6_1423 Depth=2
	s_or_b32 s11, s10, s11
	s_delay_alu instid0(SALU_CYCLE_1)
	s_and_saveexec_b32 s28, s11
; %bb.1492:                             ;   in Loop: Header=BB6_1423 Depth=2
	v_lshrrev_b32_e32 v16, 16, v12
	v_cmp_lt_u16_e32 vcc_lo, 0x7c00, v34
	s_delay_alu instid0(VALU_DEP_2) | instskip(SKIP_1) | instid1(VALU_DEP_1)
	v_cmp_gt_f16_e64 s11, v12, v16
	s_and_b32 s10, s10, vcc_lo
	v_cndmask_b32_e64 v12, v12, v16, s11
	s_delay_alu instid0(VALU_DEP_1)
	v_cndmask_b32_e64 v33, v12, 0x7fff, s10
; %bb.1493:                             ;   in Loop: Header=BB6_1423 Depth=2
	s_or_b32 exec_lo, exec_lo, s28
	s_delay_alu instid0(VALU_DEP_1)
	v_mov_b32_e32 v35, v33
.LBB6_1494:                             ;   in Loop: Header=BB6_1423 Depth=2
	s_or_b32 exec_lo, exec_lo, s12
	s_delay_alu instid0(VALU_DEP_1)
	v_mov_b32_e32 v16, v35
.LBB6_1495:                             ;   in Loop: Header=BB6_1423 Depth=2
	v_and_b32_e32 v12, 0x7fff, v17
	v_and_b32_e32 v33, 0x7fff, v13
	v_perm_b32 v34, v13, v17, 0x5040100
	s_mov_b32 s12, -1
	s_and_b32 vcc_lo, exec_lo, s27
	v_cmp_lt_u16_e64 s10, 0x7c00, v12
	v_cmp_gt_u16_e64 s11, 0x7c01, v33
                                        ; implicit-def: $vgpr12
	s_delay_alu instid0(VALU_DEP_1) | instskip(NEXT) | instid1(SALU_CYCLE_1)
	s_and_b32 s28, s10, s11
	s_xor_b32 s28, s28, -1
	s_cbranch_vccz .LBB6_1501
; %bb.1496:                             ;   in Loop: Header=BB6_1423 Depth=2
	v_mov_b32_e32 v12, v13
	s_and_saveexec_b32 s29, s28
	s_cbranch_execz .LBB6_1500
; %bb.1497:                             ;   in Loop: Header=BB6_1423 Depth=2
	v_mov_b32_e32 v12, v17
	s_or_b32 s12, s10, s11
	s_delay_alu instid0(SALU_CYCLE_1)
	s_and_saveexec_b32 vcc_hi, s12
; %bb.1498:                             ;   in Loop: Header=BB6_1423 Depth=2
	v_lshrrev_b32_e32 v12, 16, v34
	v_cmp_lt_u16_e32 vcc_lo, 0x7c00, v33
	s_delay_alu instid0(VALU_DEP_2) | instskip(NEXT) | instid1(VALU_DEP_1)
	v_cmp_gt_f16_e64 s12, v34, v12
	v_cndmask_b32_e64 v12, v12, v34, s12
	s_and_b32 s12, s10, vcc_lo
	s_delay_alu instid0(VALU_DEP_1) | instid1(SALU_CYCLE_1)
	v_cndmask_b32_e64 v12, v12, 0x7fff, s12
; %bb.1499:                             ;   in Loop: Header=BB6_1423 Depth=2
	s_or_b32 exec_lo, exec_lo, vcc_hi
.LBB6_1500:                             ;   in Loop: Header=BB6_1423 Depth=2
	s_delay_alu instid0(SALU_CYCLE_1)
	s_or_b32 exec_lo, exec_lo, s29
	s_mov_b32 s12, 0
.LBB6_1501:                             ;   in Loop: Header=BB6_1423 Depth=2
	s_delay_alu instid0(SALU_CYCLE_1)
	s_and_not1_b32 vcc_lo, exec_lo, s12
	s_cbranch_vccnz .LBB6_1507
; %bb.1502:                             ;   in Loop: Header=BB6_1423 Depth=2
	v_mov_b32_e32 v12, v13
	s_and_saveexec_b32 s12, s28
	s_cbranch_execz .LBB6_1506
; %bb.1503:                             ;   in Loop: Header=BB6_1423 Depth=2
	v_mov_b32_e32 v12, v17
	s_or_b32 s11, s10, s11
	s_delay_alu instid0(SALU_CYCLE_1)
	s_and_saveexec_b32 s28, s11
; %bb.1504:                             ;   in Loop: Header=BB6_1423 Depth=2
	v_lshrrev_b32_e32 v12, 16, v34
	v_cmp_lt_u16_e32 vcc_lo, 0x7c00, v33
	s_delay_alu instid0(VALU_DEP_2) | instskip(SKIP_1) | instid1(VALU_DEP_1)
	v_cmp_gt_f16_e64 s11, v34, v12
	s_and_b32 s10, s10, vcc_lo
	v_cndmask_b32_e64 v12, v34, v12, s11
	s_delay_alu instid0(VALU_DEP_1)
	v_cndmask_b32_e64 v12, v12, 0x7fff, s10
; %bb.1505:                             ;   in Loop: Header=BB6_1423 Depth=2
	s_or_b32 exec_lo, exec_lo, s28
.LBB6_1506:                             ;   in Loop: Header=BB6_1423 Depth=2
	s_delay_alu instid0(SALU_CYCLE_1)
	s_or_b32 exec_lo, exec_lo, s12
.LBB6_1507:                             ;   in Loop: Header=BB6_1423 Depth=2
	v_lshrrev_b32_e32 v33, 16, v17
	v_lshrrev_b32_e32 v35, 16, v13
	v_perm_b32 v13, v13, v17, 0x7060302
	s_mov_b32 s12, -1
	s_and_b32 vcc_lo, exec_lo, s27
	v_and_b32_e32 v36, 0x7fff, v33
	v_and_b32_e32 v34, 0x7fff, v35
                                        ; implicit-def: $vgpr17
	s_delay_alu instid0(VALU_DEP_2) | instskip(NEXT) | instid1(VALU_DEP_2)
	v_cmp_lt_u16_e64 s10, 0x7c00, v36
	v_cmp_gt_u16_e64 s11, 0x7c01, v34
	s_delay_alu instid0(VALU_DEP_1) | instskip(NEXT) | instid1(SALU_CYCLE_1)
	s_and_b32 s28, s10, s11
	s_xor_b32 s28, s28, -1
	s_cbranch_vccz .LBB6_1513
; %bb.1508:                             ;   in Loop: Header=BB6_1423 Depth=2
	v_mov_b32_e32 v17, v35
	s_and_saveexec_b32 s29, s28
	s_cbranch_execz .LBB6_1512
; %bb.1509:                             ;   in Loop: Header=BB6_1423 Depth=2
	v_mov_b32_e32 v17, v33
	s_or_b32 s12, s10, s11
	s_delay_alu instid0(SALU_CYCLE_1)
	s_and_saveexec_b32 vcc_hi, s12
; %bb.1510:                             ;   in Loop: Header=BB6_1423 Depth=2
	v_lshrrev_b32_e32 v17, 16, v13
	v_cmp_lt_u16_e32 vcc_lo, 0x7c00, v34
	s_delay_alu instid0(VALU_DEP_2) | instskip(NEXT) | instid1(VALU_DEP_1)
	v_cmp_gt_f16_e64 s12, v13, v17
	v_cndmask_b32_e64 v17, v17, v13, s12
	s_and_b32 s12, s10, vcc_lo
	s_delay_alu instid0(VALU_DEP_1) | instid1(SALU_CYCLE_1)
	v_cndmask_b32_e64 v17, v17, 0x7fff, s12
; %bb.1511:                             ;   in Loop: Header=BB6_1423 Depth=2
	s_or_b32 exec_lo, exec_lo, vcc_hi
.LBB6_1512:                             ;   in Loop: Header=BB6_1423 Depth=2
	s_delay_alu instid0(SALU_CYCLE_1)
	s_or_b32 exec_lo, exec_lo, s29
	s_mov_b32 s12, 0
.LBB6_1513:                             ;   in Loop: Header=BB6_1423 Depth=2
	s_delay_alu instid0(SALU_CYCLE_1)
	s_and_not1_b32 vcc_lo, exec_lo, s12
	s_cbranch_vccnz .LBB6_1422
; %bb.1514:                             ;   in Loop: Header=BB6_1423 Depth=2
	s_and_saveexec_b32 s12, s28
	s_cbranch_execz .LBB6_1421
; %bb.1515:                             ;   in Loop: Header=BB6_1423 Depth=2
	s_or_b32 s11, s10, s11
	s_delay_alu instid0(SALU_CYCLE_1)
	s_and_saveexec_b32 s28, s11
	s_cbranch_execz .LBB6_1420
; %bb.1516:                             ;   in Loop: Header=BB6_1423 Depth=2
	v_lshrrev_b32_e32 v17, 16, v13
	v_cmp_lt_u16_e32 vcc_lo, 0x7c00, v34
	s_delay_alu instid0(VALU_DEP_2) | instskip(SKIP_1) | instid1(VALU_DEP_1)
	v_cmp_gt_f16_e64 s11, v13, v17
	s_and_b32 s10, s10, vcc_lo
	v_cndmask_b32_e64 v13, v13, v17, s11
	s_delay_alu instid0(VALU_DEP_1)
	v_cndmask_b32_e64 v33, v13, 0x7fff, s10
	s_branch .LBB6_1420
.LBB6_1517:                             ;   in Loop: Header=BB6_945 Depth=1
	s_or_b32 exec_lo, exec_lo, s26
.LBB6_1518:                             ;   in Loop: Header=BB6_945 Depth=1
	s_delay_alu instid0(SALU_CYCLE_1) | instskip(SKIP_3) | instid1(VALU_DEP_1)
	s_or_b32 exec_lo, exec_lo, s25
	v_dual_mov_b32 v16, 0 :: v_dual_and_b32 v11, 14, v144
	s_mov_b32 s10, 0
	s_mov_b32 s11, exec_lo
                                        ; implicit-def: $vgpr17
                                        ; implicit-def: $vgpr10
	v_cndmask_b32_e64 v144, v27, v11, s7
	s_delay_alu instid0(VALU_DEP_1)
	v_cmpx_ne_u32_e32 0, v144
	s_cbranch_execz .LBB6_1520
; %bb.1519:                             ;   in Loop: Header=BB6_945 Depth=1
	v_cmp_lt_i32_e32 vcc_lo, 0, v28
	v_sub_nc_u32_e32 v11, v27, v11
	s_mov_b32 s10, exec_lo
	v_cndmask_b32_e32 v10, 0, v87, vcc_lo
	s_delay_alu instid0(VALU_DEP_2) | instskip(NEXT) | instid1(VALU_DEP_2)
	v_cndmask_b32_e64 v11, 0, v11, s7
	v_sub_nc_u32_e32 v10, v10, v28
	s_delay_alu instid0(VALU_DEP_2) | instskip(NEXT) | instid1(VALU_DEP_2)
	v_add3_u32 v16, v25, v24, v11
	v_lshl_add_u32 v17, v10, 5, v26
	s_delay_alu instid0(VALU_DEP_1) | instskip(NEXT) | instid1(VALU_DEP_1)
	v_ashrrev_i32_e32 v10, 31, v17
	v_lshrrev_b32_e32 v10, 27, v10
	s_delay_alu instid0(VALU_DEP_1) | instskip(NEXT) | instid1(VALU_DEP_1)
	v_add_nc_u32_e32 v10, v17, v10
	v_ashrrev_i32_e32 v10, 5, v10
.LBB6_1520:                             ;   in Loop: Header=BB6_945 Depth=1
	s_or_b32 exec_lo, exec_lo, s11
	s_delay_alu instid0(SALU_CYCLE_1)
	s_and_b32 s7, s10, exec_lo
.LBB6_1521:                             ;   in Loop: Header=BB6_945 Depth=1
	s_or_b32 exec_lo, exec_lo, s24
.LBB6_1522:                             ;   in Loop: Header=BB6_945 Depth=1
	s_and_saveexec_b32 s12, s7
	s_cbranch_execz .LBB6_1737
; %bb.1523:                             ;   in Loop: Header=BB6_945 Depth=1
	v_ashrrev_i32_e32 v11, 31, v144
	s_mov_b32 s24, exec_lo
	s_delay_alu instid0(VALU_DEP_1) | instskip(NEXT) | instid1(VALU_DEP_1)
	v_lshrrev_b32_e32 v11, 22, v11
	v_add_nc_u32_e32 v11, v144, v11
	s_delay_alu instid0(VALU_DEP_1) | instskip(NEXT) | instid1(VALU_DEP_1)
	v_ashrrev_i32_e32 v19, 10, v11
	v_sub_nc_u32_e32 v18, v19, v10
	s_delay_alu instid0(VALU_DEP_1)
	v_cmpx_lt_i32_e32 0, v18
	s_cbranch_execz .LBB6_1720
; %bb.1524:                             ;   in Loop: Header=BB6_945 Depth=1
	s_cbranch_execnz .LBB6_2254
; %bb.1525:                             ;   in Loop: Header=BB6_945 Depth=1
	v_ashrrev_i32_e32 v11, 31, v17
	ds_load_b64 v[20:21], v0
	v_lshlrev_b32_e32 v10, 10, v10
	s_bitcmp1_b32 s23, 0
	s_mov_b32 s26, 0
	v_lshrrev_b32_e32 v11, 27, v11
	s_cselect_b32 s25, -1, 0
	s_delay_alu instid0(VALU_DEP_1) | instskip(NEXT) | instid1(VALU_DEP_1)
	v_add_nc_u32_e32 v11, v17, v11
	v_and_b32_e32 v11, 0x7fffffe0, v11
	s_delay_alu instid0(VALU_DEP_1)
	v_sub_nc_u32_e32 v15, v17, v11
	ds_load_b128 v[11:14], v0
	s_waitcnt lgkmcnt(1)
	v_add_co_u32 v20, vcc_lo, 0x3c0, v20
	v_add_co_ci_u32_e32 v21, vcc_lo, 0, v21, vcc_lo
	v_lshlrev_b32_e32 v15, 1, v15
	s_delay_alu instid0(VALU_DEP_1) | instskip(NEXT) | instid1(VALU_DEP_1)
	v_add3_u32 v15, v15, v16, v10
	v_ashrrev_i32_e32 v22, 31, v15
	s_waitcnt lgkmcnt(0)
	v_add_co_u32 v10, vcc_lo, v11, v15
	s_delay_alu instid0(VALU_DEP_2)
	v_add_co_ci_u32_e32 v11, vcc_lo, v12, v22, vcc_lo
	v_add_co_u32 v12, vcc_lo, v13, v15
	v_add_co_ci_u32_e32 v13, vcc_lo, v14, v22, vcc_lo
	v_add_co_u32 v14, vcc_lo, v20, v15
	v_add_co_ci_u32_e32 v15, vcc_lo, v21, v22, vcc_lo
	s_branch .LBB6_1529
.LBB6_1526:                             ;   in Loop: Header=BB6_1529 Depth=2
	s_or_b32 exec_lo, exec_lo, s27
	s_delay_alu instid0(VALU_DEP_1)
	v_mov_b32_e32 v21, v20
.LBB6_1527:                             ;   in Loop: Header=BB6_1529 Depth=2
	s_or_b32 exec_lo, exec_lo, s11
	s_delay_alu instid0(VALU_DEP_1)
	v_mov_b32_e32 v23, v21
.LBB6_1528:                             ;   in Loop: Header=BB6_1529 Depth=2
	v_add_co_u32 v20, vcc_lo, 0xfffffc40, v14
	v_add_co_ci_u32_e32 v21, vcc_lo, -1, v15, vcc_lo
	v_add_co_u32 v97, vcc_lo, 0xfffffc80, v14
	v_add_co_ci_u32_e32 v98, vcc_lo, -1, v15, vcc_lo
	;; [unrolled: 2-line block ×5, first 2 shown]
	flat_store_b16 v[20:21], v22 glc slc dlc
	flat_store_b16 v[97:98], v25 glc slc dlc
	;; [unrolled: 1-line block ×5, first 2 shown]
	v_add_co_u32 v20, vcc_lo, 0xfffffd80, v14
	v_add_co_ci_u32_e32 v21, vcc_lo, -1, v15, vcc_lo
	v_add_co_u32 v24, vcc_lo, 0xfffffdc0, v14
	v_add_co_ci_u32_e32 v25, vcc_lo, -1, v15, vcc_lo
	;; [unrolled: 2-line block ×5, first 2 shown]
	flat_store_b16 v[20:21], v38 glc slc dlc
	flat_store_b16 v[24:25], v49 glc slc dlc
	;; [unrolled: 1-line block ×5, first 2 shown]
	v_add_co_u32 v20, vcc_lo, 0xfffffec0, v14
	v_add_co_ci_u32_e32 v21, vcc_lo, -1, v15, vcc_lo
	v_add_co_u32 v24, vcc_lo, 0xffffff00, v14
	v_add_co_ci_u32_e32 v25, vcc_lo, -1, v15, vcc_lo
	;; [unrolled: 2-line block ×5, first 2 shown]
	v_add_co_u32 v10, vcc_lo, v10, v129
	v_sub_nc_u32_e32 v18, v18, v87
	v_add_co_ci_u32_e32 v11, vcc_lo, v11, v130, vcc_lo
	v_add_co_u32 v12, vcc_lo, v12, v129
	v_add_co_ci_u32_e32 v13, vcc_lo, v13, v130, vcc_lo
	flat_store_b16 v[20:21], v48 glc slc dlc
	flat_store_b16 v[24:25], v37 glc slc dlc
	;; [unrolled: 1-line block ×6, first 2 shown]
	v_cmp_gt_i32_e32 vcc_lo, 1, v18
	v_add_co_u32 v14, s7, v14, v129
	s_delay_alu instid0(VALU_DEP_1) | instskip(SKIP_1) | instid1(SALU_CYCLE_1)
	v_add_co_ci_u32_e64 v15, s7, v15, v130, s7
	s_or_b32 s26, vcc_lo, s26
	s_and_not1_b32 exec_lo, exec_lo, s26
	s_cbranch_execz .LBB6_1719
.LBB6_1529:                             ;   Parent Loop BB6_945 Depth=1
                                        ; =>  This Inner Loop Header: Depth=2
	s_clause 0x7
	flat_load_u16 v25, v[10:11] slc dlc
	flat_load_u16 v28, v[10:11] offset:64 slc dlc
	flat_load_u16 v33, v[10:11] offset:128 slc dlc
	;; [unrolled: 1-line block ×7, first 2 shown]
	flat_load_u16 v149, v[12:13] slc dlc
	s_clause 0x7
	flat_load_u16 v51, v[10:11] offset:512 slc dlc
	flat_load_u16 v48, v[10:11] offset:576 slc dlc
	;; [unrolled: 1-line block ×8, first 2 shown]
	s_clause 0xe
	flat_load_u16 v148, v[12:13] offset:64 slc dlc
	flat_load_u16 v147, v[12:13] offset:128 slc dlc
	;; [unrolled: 1-line block ×15, first 2 shown]
	s_mov_b32 s11, -1
	s_and_b32 vcc_lo, exec_lo, s25
	s_waitcnt vmcnt(31) lgkmcnt(31)
	v_and_b32_e32 v22, 0x7fff, v25
	s_delay_alu instid0(VALU_DEP_1) | instskip(SKIP_2) | instid1(VALU_DEP_1)
	v_cmp_lt_u16_e64 s7, 0x7c00, v22
                                        ; implicit-def: $vgpr22
	s_waitcnt vmcnt(23) lgkmcnt(23)
	v_and_b32_e32 v150, 0x7fff, v149
	v_cmp_gt_u16_e64 s10, 0x7c01, v150
	s_delay_alu instid0(VALU_DEP_1) | instskip(NEXT) | instid1(SALU_CYCLE_1)
	s_and_b32 s27, s7, s10
	s_xor_b32 s27, s27, -1
	s_cbranch_vccz .LBB6_1535
; %bb.1530:                             ;   in Loop: Header=BB6_1529 Depth=2
	v_mov_b32_e32 v22, v149
	s_and_saveexec_b32 s28, s27
	s_cbranch_execz .LBB6_1534
; %bb.1531:                             ;   in Loop: Header=BB6_1529 Depth=2
	v_mov_b32_e32 v22, v25
	s_or_b32 s11, s7, s10
	s_delay_alu instid0(SALU_CYCLE_1)
	s_and_saveexec_b32 s29, s11
; %bb.1532:                             ;   in Loop: Header=BB6_1529 Depth=2
	v_cmp_gt_f16_e64 s11, v25, v149
	v_cmp_lt_u16_e64 vcc_lo, 0x7c00, v150
	s_delay_alu instid0(VALU_DEP_2) | instskip(NEXT) | instid1(VALU_DEP_2)
	v_cndmask_b32_e64 v22, v149, v25, s11
	s_and_b32 s11, s7, vcc_lo
	s_delay_alu instid0(VALU_DEP_1) | instid1(SALU_CYCLE_1)
	v_cndmask_b32_e64 v22, v22, 0x7fff, s11
; %bb.1533:                             ;   in Loop: Header=BB6_1529 Depth=2
	s_or_b32 exec_lo, exec_lo, s29
.LBB6_1534:                             ;   in Loop: Header=BB6_1529 Depth=2
	s_delay_alu instid0(SALU_CYCLE_1)
	s_or_b32 exec_lo, exec_lo, s28
	s_mov_b32 s11, 0
.LBB6_1535:                             ;   in Loop: Header=BB6_1529 Depth=2
	s_delay_alu instid0(SALU_CYCLE_1)
	s_and_not1_b32 vcc_lo, exec_lo, s11
	s_cbranch_vccnz .LBB6_1541
; %bb.1536:                             ;   in Loop: Header=BB6_1529 Depth=2
	s_and_saveexec_b32 s11, s27
	s_cbranch_execz .LBB6_1540
; %bb.1537:                             ;   in Loop: Header=BB6_1529 Depth=2
	s_or_b32 s10, s7, s10
	s_delay_alu instid0(SALU_CYCLE_1)
	s_and_saveexec_b32 s27, s10
; %bb.1538:                             ;   in Loop: Header=BB6_1529 Depth=2
	v_cmp_gt_f16_e64 s10, v25, v149
	v_cmp_lt_u16_e64 vcc_lo, 0x7c00, v150
	s_delay_alu instid0(VALU_DEP_2) | instskip(NEXT) | instid1(VALU_DEP_2)
	v_cndmask_b32_e64 v22, v25, v149, s10
	s_and_b32 s7, s7, vcc_lo
	s_delay_alu instid0(VALU_DEP_1) | instid1(SALU_CYCLE_1)
	v_cndmask_b32_e64 v25, v22, 0x7fff, s7
; %bb.1539:                             ;   in Loop: Header=BB6_1529 Depth=2
	s_or_b32 exec_lo, exec_lo, s27
	s_delay_alu instid0(VALU_DEP_1)
	v_mov_b32_e32 v149, v25
.LBB6_1540:                             ;   in Loop: Header=BB6_1529 Depth=2
	s_or_b32 exec_lo, exec_lo, s11
	s_delay_alu instid0(VALU_DEP_1)
	v_mov_b32_e32 v22, v149
.LBB6_1541:                             ;   in Loop: Header=BB6_1529 Depth=2
	v_and_b32_e32 v25, 0x7fff, v28
	s_waitcnt vmcnt(14) lgkmcnt(14)
	v_and_b32_e32 v149, 0x7fff, v148
	s_mov_b32 s11, -1
	s_and_not1_b32 vcc_lo, exec_lo, s25
	v_cmp_lt_u16_e64 s7, 0x7c00, v25
	s_delay_alu instid0(VALU_DEP_2) | instskip(NEXT) | instid1(VALU_DEP_1)
	v_cmp_gt_u16_e64 s10, 0x7c01, v149
                                        ; implicit-def: $vgpr25
	s_and_b32 s27, s7, s10
	s_delay_alu instid0(SALU_CYCLE_1)
	s_xor_b32 s27, s27, -1
	s_cbranch_vccnz .LBB6_1547
; %bb.1542:                             ;   in Loop: Header=BB6_1529 Depth=2
	v_mov_b32_e32 v25, v148
	s_and_saveexec_b32 s28, s27
	s_cbranch_execz .LBB6_1546
; %bb.1543:                             ;   in Loop: Header=BB6_1529 Depth=2
	v_mov_b32_e32 v25, v28
	s_or_b32 s11, s7, s10
	s_delay_alu instid0(SALU_CYCLE_1)
	s_and_saveexec_b32 s29, s11
; %bb.1544:                             ;   in Loop: Header=BB6_1529 Depth=2
	v_cmp_gt_f16_e64 s11, v28, v148
	v_cmp_lt_u16_e64 vcc_lo, 0x7c00, v149
	s_delay_alu instid0(VALU_DEP_2) | instskip(NEXT) | instid1(VALU_DEP_2)
	v_cndmask_b32_e64 v25, v148, v28, s11
	s_and_b32 s11, s7, vcc_lo
	s_delay_alu instid0(VALU_DEP_1) | instid1(SALU_CYCLE_1)
	v_cndmask_b32_e64 v25, v25, 0x7fff, s11
; %bb.1545:                             ;   in Loop: Header=BB6_1529 Depth=2
	s_or_b32 exec_lo, exec_lo, s29
.LBB6_1546:                             ;   in Loop: Header=BB6_1529 Depth=2
	s_delay_alu instid0(SALU_CYCLE_1)
	s_or_b32 exec_lo, exec_lo, s28
	s_mov_b32 s11, 0
.LBB6_1547:                             ;   in Loop: Header=BB6_1529 Depth=2
	s_delay_alu instid0(SALU_CYCLE_1)
	s_and_not1_b32 vcc_lo, exec_lo, s11
	s_cbranch_vccnz .LBB6_1553
; %bb.1548:                             ;   in Loop: Header=BB6_1529 Depth=2
	s_and_saveexec_b32 s11, s27
	s_cbranch_execz .LBB6_1552
; %bb.1549:                             ;   in Loop: Header=BB6_1529 Depth=2
	s_or_b32 s10, s7, s10
	s_delay_alu instid0(SALU_CYCLE_1)
	s_and_saveexec_b32 s27, s10
; %bb.1550:                             ;   in Loop: Header=BB6_1529 Depth=2
	v_cmp_gt_f16_e64 s10, v28, v148
	v_cmp_lt_u16_e64 vcc_lo, 0x7c00, v149
	s_delay_alu instid0(VALU_DEP_2) | instskip(NEXT) | instid1(VALU_DEP_2)
	v_cndmask_b32_e64 v25, v28, v148, s10
	s_and_b32 s7, s7, vcc_lo
	s_delay_alu instid0(VALU_DEP_1) | instid1(SALU_CYCLE_1)
	v_cndmask_b32_e64 v28, v25, 0x7fff, s7
; %bb.1551:                             ;   in Loop: Header=BB6_1529 Depth=2
	s_or_b32 exec_lo, exec_lo, s27
	s_delay_alu instid0(VALU_DEP_1)
	v_mov_b32_e32 v148, v28
.LBB6_1552:                             ;   in Loop: Header=BB6_1529 Depth=2
	s_or_b32 exec_lo, exec_lo, s11
	s_delay_alu instid0(VALU_DEP_1)
	v_mov_b32_e32 v25, v148
.LBB6_1553:                             ;   in Loop: Header=BB6_1529 Depth=2
	v_and_b32_e32 v28, 0x7fff, v33
	s_waitcnt vmcnt(13) lgkmcnt(13)
	v_and_b32_e32 v148, 0x7fff, v147
	s_mov_b32 s11, -1
	s_and_not1_b32 vcc_lo, exec_lo, s25
	v_cmp_lt_u16_e64 s7, 0x7c00, v28
	s_delay_alu instid0(VALU_DEP_2) | instskip(NEXT) | instid1(VALU_DEP_1)
	v_cmp_gt_u16_e64 s10, 0x7c01, v148
                                        ; implicit-def: $vgpr28
	s_and_b32 s27, s7, s10
	s_delay_alu instid0(SALU_CYCLE_1)
	s_xor_b32 s27, s27, -1
	s_cbranch_vccnz .LBB6_1559
; %bb.1554:                             ;   in Loop: Header=BB6_1529 Depth=2
	v_mov_b32_e32 v28, v147
	s_and_saveexec_b32 s28, s27
	s_cbranch_execz .LBB6_1558
; %bb.1555:                             ;   in Loop: Header=BB6_1529 Depth=2
	v_mov_b32_e32 v28, v33
	s_or_b32 s11, s7, s10
	s_delay_alu instid0(SALU_CYCLE_1)
	s_and_saveexec_b32 s29, s11
; %bb.1556:                             ;   in Loop: Header=BB6_1529 Depth=2
	v_cmp_gt_f16_e64 s11, v33, v147
	v_cmp_lt_u16_e64 vcc_lo, 0x7c00, v148
	s_delay_alu instid0(VALU_DEP_2) | instskip(NEXT) | instid1(VALU_DEP_2)
	v_cndmask_b32_e64 v28, v147, v33, s11
	s_and_b32 s11, s7, vcc_lo
	s_delay_alu instid0(VALU_DEP_1) | instid1(SALU_CYCLE_1)
	v_cndmask_b32_e64 v28, v28, 0x7fff, s11
; %bb.1557:                             ;   in Loop: Header=BB6_1529 Depth=2
	s_or_b32 exec_lo, exec_lo, s29
.LBB6_1558:                             ;   in Loop: Header=BB6_1529 Depth=2
	s_delay_alu instid0(SALU_CYCLE_1)
	s_or_b32 exec_lo, exec_lo, s28
	s_mov_b32 s11, 0
.LBB6_1559:                             ;   in Loop: Header=BB6_1529 Depth=2
	s_delay_alu instid0(SALU_CYCLE_1)
	s_and_not1_b32 vcc_lo, exec_lo, s11
	s_cbranch_vccnz .LBB6_1565
; %bb.1560:                             ;   in Loop: Header=BB6_1529 Depth=2
	s_and_saveexec_b32 s11, s27
	s_cbranch_execz .LBB6_1564
; %bb.1561:                             ;   in Loop: Header=BB6_1529 Depth=2
	s_or_b32 s10, s7, s10
	s_delay_alu instid0(SALU_CYCLE_1)
	s_and_saveexec_b32 s27, s10
; %bb.1562:                             ;   in Loop: Header=BB6_1529 Depth=2
	v_cmp_gt_f16_e64 s10, v33, v147
	v_cmp_lt_u16_e64 vcc_lo, 0x7c00, v148
	s_delay_alu instid0(VALU_DEP_2) | instskip(NEXT) | instid1(VALU_DEP_2)
	v_cndmask_b32_e64 v28, v33, v147, s10
	s_and_b32 s7, s7, vcc_lo
	s_delay_alu instid0(VALU_DEP_1) | instid1(SALU_CYCLE_1)
	v_cndmask_b32_e64 v33, v28, 0x7fff, s7
; %bb.1563:                             ;   in Loop: Header=BB6_1529 Depth=2
	s_or_b32 exec_lo, exec_lo, s27
	s_delay_alu instid0(VALU_DEP_1)
	v_mov_b32_e32 v147, v33
.LBB6_1564:                             ;   in Loop: Header=BB6_1529 Depth=2
	s_or_b32 exec_lo, exec_lo, s11
	s_delay_alu instid0(VALU_DEP_1)
	v_mov_b32_e32 v28, v147
.LBB6_1565:                             ;   in Loop: Header=BB6_1529 Depth=2
	v_and_b32_e32 v33, 0x7fff, v36
	s_waitcnt vmcnt(12) lgkmcnt(12)
	v_and_b32_e32 v147, 0x7fff, v146
	s_mov_b32 s11, -1
	s_and_not1_b32 vcc_lo, exec_lo, s25
	v_cmp_lt_u16_e64 s7, 0x7c00, v33
	s_delay_alu instid0(VALU_DEP_2) | instskip(NEXT) | instid1(VALU_DEP_1)
	v_cmp_gt_u16_e64 s10, 0x7c01, v147
                                        ; implicit-def: $vgpr33
	s_and_b32 s27, s7, s10
	s_delay_alu instid0(SALU_CYCLE_1)
	s_xor_b32 s27, s27, -1
	s_cbranch_vccnz .LBB6_1571
; %bb.1566:                             ;   in Loop: Header=BB6_1529 Depth=2
	v_mov_b32_e32 v33, v146
	s_and_saveexec_b32 s28, s27
	s_cbranch_execz .LBB6_1570
; %bb.1567:                             ;   in Loop: Header=BB6_1529 Depth=2
	v_mov_b32_e32 v33, v36
	s_or_b32 s11, s7, s10
	s_delay_alu instid0(SALU_CYCLE_1)
	s_and_saveexec_b32 s29, s11
; %bb.1568:                             ;   in Loop: Header=BB6_1529 Depth=2
	v_cmp_gt_f16_e64 s11, v36, v146
	v_cmp_lt_u16_e64 vcc_lo, 0x7c00, v147
	s_delay_alu instid0(VALU_DEP_2) | instskip(NEXT) | instid1(VALU_DEP_2)
	v_cndmask_b32_e64 v33, v146, v36, s11
	s_and_b32 s11, s7, vcc_lo
	s_delay_alu instid0(VALU_DEP_1) | instid1(SALU_CYCLE_1)
	v_cndmask_b32_e64 v33, v33, 0x7fff, s11
; %bb.1569:                             ;   in Loop: Header=BB6_1529 Depth=2
	s_or_b32 exec_lo, exec_lo, s29
.LBB6_1570:                             ;   in Loop: Header=BB6_1529 Depth=2
	s_delay_alu instid0(SALU_CYCLE_1)
	s_or_b32 exec_lo, exec_lo, s28
	s_mov_b32 s11, 0
.LBB6_1571:                             ;   in Loop: Header=BB6_1529 Depth=2
	s_delay_alu instid0(SALU_CYCLE_1)
	s_and_not1_b32 vcc_lo, exec_lo, s11
	s_cbranch_vccnz .LBB6_1577
; %bb.1572:                             ;   in Loop: Header=BB6_1529 Depth=2
	s_and_saveexec_b32 s11, s27
	s_cbranch_execz .LBB6_1576
; %bb.1573:                             ;   in Loop: Header=BB6_1529 Depth=2
	s_or_b32 s10, s7, s10
	s_delay_alu instid0(SALU_CYCLE_1)
	s_and_saveexec_b32 s27, s10
; %bb.1574:                             ;   in Loop: Header=BB6_1529 Depth=2
	v_cmp_gt_f16_e64 s10, v36, v146
	v_cmp_lt_u16_e64 vcc_lo, 0x7c00, v147
	s_delay_alu instid0(VALU_DEP_2) | instskip(NEXT) | instid1(VALU_DEP_2)
	v_cndmask_b32_e64 v33, v36, v146, s10
	s_and_b32 s7, s7, vcc_lo
	s_delay_alu instid0(VALU_DEP_1) | instid1(SALU_CYCLE_1)
	v_cndmask_b32_e64 v36, v33, 0x7fff, s7
; %bb.1575:                             ;   in Loop: Header=BB6_1529 Depth=2
	s_or_b32 exec_lo, exec_lo, s27
	s_delay_alu instid0(VALU_DEP_1)
	v_mov_b32_e32 v146, v36
.LBB6_1576:                             ;   in Loop: Header=BB6_1529 Depth=2
	s_or_b32 exec_lo, exec_lo, s11
	s_delay_alu instid0(VALU_DEP_1)
	v_mov_b32_e32 v33, v146
.LBB6_1577:                             ;   in Loop: Header=BB6_1529 Depth=2
	v_and_b32_e32 v36, 0x7fff, v38
	s_waitcnt vmcnt(11) lgkmcnt(11)
	v_and_b32_e32 v146, 0x7fff, v145
	s_mov_b32 s11, -1
	s_and_not1_b32 vcc_lo, exec_lo, s25
	v_cmp_lt_u16_e64 s7, 0x7c00, v36
	s_delay_alu instid0(VALU_DEP_2) | instskip(NEXT) | instid1(VALU_DEP_1)
	v_cmp_gt_u16_e64 s10, 0x7c01, v146
                                        ; implicit-def: $vgpr36
	s_and_b32 s27, s7, s10
	s_delay_alu instid0(SALU_CYCLE_1)
	s_xor_b32 s27, s27, -1
	s_cbranch_vccnz .LBB6_1583
; %bb.1578:                             ;   in Loop: Header=BB6_1529 Depth=2
	v_mov_b32_e32 v36, v145
	s_and_saveexec_b32 s28, s27
	s_cbranch_execz .LBB6_1582
; %bb.1579:                             ;   in Loop: Header=BB6_1529 Depth=2
	v_mov_b32_e32 v36, v38
	s_or_b32 s11, s7, s10
	s_delay_alu instid0(SALU_CYCLE_1)
	s_and_saveexec_b32 s29, s11
; %bb.1580:                             ;   in Loop: Header=BB6_1529 Depth=2
	v_cmp_gt_f16_e64 s11, v38, v145
	v_cmp_lt_u16_e64 vcc_lo, 0x7c00, v146
	s_delay_alu instid0(VALU_DEP_2) | instskip(NEXT) | instid1(VALU_DEP_2)
	v_cndmask_b32_e64 v36, v145, v38, s11
	s_and_b32 s11, s7, vcc_lo
	s_delay_alu instid0(VALU_DEP_1) | instid1(SALU_CYCLE_1)
	v_cndmask_b32_e64 v36, v36, 0x7fff, s11
; %bb.1581:                             ;   in Loop: Header=BB6_1529 Depth=2
	s_or_b32 exec_lo, exec_lo, s29
.LBB6_1582:                             ;   in Loop: Header=BB6_1529 Depth=2
	s_delay_alu instid0(SALU_CYCLE_1)
	s_or_b32 exec_lo, exec_lo, s28
	s_mov_b32 s11, 0
.LBB6_1583:                             ;   in Loop: Header=BB6_1529 Depth=2
	s_delay_alu instid0(SALU_CYCLE_1)
	s_and_not1_b32 vcc_lo, exec_lo, s11
	s_cbranch_vccnz .LBB6_1589
; %bb.1584:                             ;   in Loop: Header=BB6_1529 Depth=2
	s_and_saveexec_b32 s11, s27
	s_cbranch_execz .LBB6_1588
; %bb.1585:                             ;   in Loop: Header=BB6_1529 Depth=2
	s_or_b32 s10, s7, s10
	s_delay_alu instid0(SALU_CYCLE_1)
	s_and_saveexec_b32 s27, s10
; %bb.1586:                             ;   in Loop: Header=BB6_1529 Depth=2
	v_cmp_gt_f16_e64 s10, v38, v145
	v_cmp_lt_u16_e64 vcc_lo, 0x7c00, v146
	s_delay_alu instid0(VALU_DEP_2) | instskip(NEXT) | instid1(VALU_DEP_2)
	v_cndmask_b32_e64 v36, v38, v145, s10
	s_and_b32 s7, s7, vcc_lo
	s_delay_alu instid0(VALU_DEP_1) | instid1(SALU_CYCLE_1)
	v_cndmask_b32_e64 v38, v36, 0x7fff, s7
; %bb.1587:                             ;   in Loop: Header=BB6_1529 Depth=2
	s_or_b32 exec_lo, exec_lo, s27
	s_delay_alu instid0(VALU_DEP_1)
	v_mov_b32_e32 v145, v38
.LBB6_1588:                             ;   in Loop: Header=BB6_1529 Depth=2
	s_or_b32 exec_lo, exec_lo, s11
	s_delay_alu instid0(VALU_DEP_1)
	v_mov_b32_e32 v36, v145
.LBB6_1589:                             ;   in Loop: Header=BB6_1529 Depth=2
	v_and_b32_e32 v38, 0x7fff, v49
	s_waitcnt vmcnt(10) lgkmcnt(10)
	v_and_b32_e32 v145, 0x7fff, v99
	s_mov_b32 s11, -1
	s_and_not1_b32 vcc_lo, exec_lo, s25
	v_cmp_lt_u16_e64 s7, 0x7c00, v38
	s_delay_alu instid0(VALU_DEP_2) | instskip(NEXT) | instid1(VALU_DEP_1)
	v_cmp_gt_u16_e64 s10, 0x7c01, v145
                                        ; implicit-def: $vgpr38
	s_and_b32 s27, s7, s10
	s_delay_alu instid0(SALU_CYCLE_1)
	s_xor_b32 s27, s27, -1
	s_cbranch_vccnz .LBB6_1595
; %bb.1590:                             ;   in Loop: Header=BB6_1529 Depth=2
	v_mov_b32_e32 v38, v99
	s_and_saveexec_b32 s28, s27
	s_cbranch_execz .LBB6_1594
; %bb.1591:                             ;   in Loop: Header=BB6_1529 Depth=2
	v_mov_b32_e32 v38, v49
	s_or_b32 s11, s7, s10
	s_delay_alu instid0(SALU_CYCLE_1)
	s_and_saveexec_b32 s29, s11
; %bb.1592:                             ;   in Loop: Header=BB6_1529 Depth=2
	v_cmp_gt_f16_e64 s11, v49, v99
	v_cmp_lt_u16_e64 vcc_lo, 0x7c00, v145
	s_delay_alu instid0(VALU_DEP_2) | instskip(NEXT) | instid1(VALU_DEP_2)
	v_cndmask_b32_e64 v38, v99, v49, s11
	s_and_b32 s11, s7, vcc_lo
	s_delay_alu instid0(VALU_DEP_1) | instid1(SALU_CYCLE_1)
	v_cndmask_b32_e64 v38, v38, 0x7fff, s11
; %bb.1593:                             ;   in Loop: Header=BB6_1529 Depth=2
	s_or_b32 exec_lo, exec_lo, s29
.LBB6_1594:                             ;   in Loop: Header=BB6_1529 Depth=2
	s_delay_alu instid0(SALU_CYCLE_1)
	s_or_b32 exec_lo, exec_lo, s28
	s_mov_b32 s11, 0
.LBB6_1595:                             ;   in Loop: Header=BB6_1529 Depth=2
	s_delay_alu instid0(SALU_CYCLE_1)
	s_and_not1_b32 vcc_lo, exec_lo, s11
	s_cbranch_vccnz .LBB6_1601
; %bb.1596:                             ;   in Loop: Header=BB6_1529 Depth=2
	s_and_saveexec_b32 s11, s27
	s_cbranch_execz .LBB6_1600
; %bb.1597:                             ;   in Loop: Header=BB6_1529 Depth=2
	s_or_b32 s10, s7, s10
	s_delay_alu instid0(SALU_CYCLE_1)
	s_and_saveexec_b32 s27, s10
; %bb.1598:                             ;   in Loop: Header=BB6_1529 Depth=2
	v_cmp_gt_f16_e64 s10, v49, v99
	v_cmp_lt_u16_e64 vcc_lo, 0x7c00, v145
	s_delay_alu instid0(VALU_DEP_2) | instskip(NEXT) | instid1(VALU_DEP_2)
	v_cndmask_b32_e64 v38, v49, v99, s10
	s_and_b32 s7, s7, vcc_lo
	s_delay_alu instid0(VALU_DEP_1) | instid1(SALU_CYCLE_1)
	v_cndmask_b32_e64 v49, v38, 0x7fff, s7
; %bb.1599:                             ;   in Loop: Header=BB6_1529 Depth=2
	s_or_b32 exec_lo, exec_lo, s27
	s_delay_alu instid0(VALU_DEP_1)
	v_mov_b32_e32 v99, v49
.LBB6_1600:                             ;   in Loop: Header=BB6_1529 Depth=2
	s_or_b32 exec_lo, exec_lo, s11
	s_delay_alu instid0(VALU_DEP_1)
	v_mov_b32_e32 v38, v99
.LBB6_1601:                             ;   in Loop: Header=BB6_1529 Depth=2
	v_and_b32_e32 v49, 0x7fff, v85
	s_waitcnt vmcnt(9) lgkmcnt(9)
	v_and_b32_e32 v99, 0x7fff, v98
	s_mov_b32 s11, -1
	s_and_not1_b32 vcc_lo, exec_lo, s25
	v_cmp_lt_u16_e64 s7, 0x7c00, v49
	s_delay_alu instid0(VALU_DEP_2) | instskip(NEXT) | instid1(VALU_DEP_1)
	v_cmp_gt_u16_e64 s10, 0x7c01, v99
                                        ; implicit-def: $vgpr49
	s_and_b32 s27, s7, s10
	s_delay_alu instid0(SALU_CYCLE_1)
	s_xor_b32 s27, s27, -1
	s_cbranch_vccnz .LBB6_1607
; %bb.1602:                             ;   in Loop: Header=BB6_1529 Depth=2
	v_mov_b32_e32 v49, v98
	s_and_saveexec_b32 s28, s27
	s_cbranch_execz .LBB6_1606
; %bb.1603:                             ;   in Loop: Header=BB6_1529 Depth=2
	v_mov_b32_e32 v49, v85
	s_or_b32 s11, s7, s10
	s_delay_alu instid0(SALU_CYCLE_1)
	s_and_saveexec_b32 s29, s11
; %bb.1604:                             ;   in Loop: Header=BB6_1529 Depth=2
	v_cmp_gt_f16_e64 s11, v85, v98
	v_cmp_lt_u16_e32 vcc_lo, 0x7c00, v99
	s_delay_alu instid0(VALU_DEP_2)
	v_cndmask_b32_e64 v49, v98, v85, s11
	s_and_b32 s11, s7, vcc_lo
	s_delay_alu instid0(VALU_DEP_1) | instid1(SALU_CYCLE_1)
	v_cndmask_b32_e64 v49, v49, 0x7fff, s11
; %bb.1605:                             ;   in Loop: Header=BB6_1529 Depth=2
	s_or_b32 exec_lo, exec_lo, s29
.LBB6_1606:                             ;   in Loop: Header=BB6_1529 Depth=2
	s_delay_alu instid0(SALU_CYCLE_1)
	s_or_b32 exec_lo, exec_lo, s28
	s_mov_b32 s11, 0
.LBB6_1607:                             ;   in Loop: Header=BB6_1529 Depth=2
	s_delay_alu instid0(SALU_CYCLE_1)
	s_and_not1_b32 vcc_lo, exec_lo, s11
	s_cbranch_vccnz .LBB6_1613
; %bb.1608:                             ;   in Loop: Header=BB6_1529 Depth=2
	s_and_saveexec_b32 s11, s27
	s_cbranch_execz .LBB6_1612
; %bb.1609:                             ;   in Loop: Header=BB6_1529 Depth=2
	s_or_b32 s10, s7, s10
	s_delay_alu instid0(SALU_CYCLE_1)
	s_and_saveexec_b32 s27, s10
; %bb.1610:                             ;   in Loop: Header=BB6_1529 Depth=2
	v_cmp_gt_f16_e64 s10, v85, v98
	v_cmp_lt_u16_e32 vcc_lo, 0x7c00, v99
	s_delay_alu instid0(VALU_DEP_2)
	v_cndmask_b32_e64 v49, v85, v98, s10
	s_and_b32 s7, s7, vcc_lo
	s_delay_alu instid0(VALU_DEP_1) | instid1(SALU_CYCLE_1)
	v_cndmask_b32_e64 v85, v49, 0x7fff, s7
; %bb.1611:                             ;   in Loop: Header=BB6_1529 Depth=2
	s_or_b32 exec_lo, exec_lo, s27
	s_delay_alu instid0(VALU_DEP_1)
	v_mov_b32_e32 v98, v85
.LBB6_1612:                             ;   in Loop: Header=BB6_1529 Depth=2
	s_or_b32 exec_lo, exec_lo, s11
	s_delay_alu instid0(VALU_DEP_1)
	v_mov_b32_e32 v49, v98
.LBB6_1613:                             ;   in Loop: Header=BB6_1529 Depth=2
	v_and_b32_e32 v85, 0x7fff, v96
	s_waitcnt vmcnt(8) lgkmcnt(8)
	v_and_b32_e32 v98, 0x7fff, v97
	s_mov_b32 s11, -1
	s_and_not1_b32 vcc_lo, exec_lo, s25
	v_cmp_lt_u16_e64 s7, 0x7c00, v85
	s_delay_alu instid0(VALU_DEP_2) | instskip(NEXT) | instid1(VALU_DEP_1)
	v_cmp_gt_u16_e64 s10, 0x7c01, v98
                                        ; implicit-def: $vgpr85
	s_and_b32 s27, s7, s10
	s_delay_alu instid0(SALU_CYCLE_1)
	s_xor_b32 s27, s27, -1
	s_cbranch_vccnz .LBB6_1619
; %bb.1614:                             ;   in Loop: Header=BB6_1529 Depth=2
	v_mov_b32_e32 v85, v97
	s_and_saveexec_b32 s28, s27
	s_cbranch_execz .LBB6_1618
; %bb.1615:                             ;   in Loop: Header=BB6_1529 Depth=2
	v_mov_b32_e32 v85, v96
	s_or_b32 s11, s7, s10
	s_delay_alu instid0(SALU_CYCLE_1)
	s_and_saveexec_b32 s29, s11
; %bb.1616:                             ;   in Loop: Header=BB6_1529 Depth=2
	v_cmp_gt_f16_e64 s11, v96, v97
	v_cmp_lt_u16_e32 vcc_lo, 0x7c00, v98
	s_delay_alu instid0(VALU_DEP_2)
	v_cndmask_b32_e64 v85, v97, v96, s11
	s_and_b32 s11, s7, vcc_lo
	s_delay_alu instid0(VALU_DEP_1) | instid1(SALU_CYCLE_1)
	v_cndmask_b32_e64 v85, v85, 0x7fff, s11
; %bb.1617:                             ;   in Loop: Header=BB6_1529 Depth=2
	s_or_b32 exec_lo, exec_lo, s29
.LBB6_1618:                             ;   in Loop: Header=BB6_1529 Depth=2
	s_delay_alu instid0(SALU_CYCLE_1)
	s_or_b32 exec_lo, exec_lo, s28
	s_mov_b32 s11, 0
.LBB6_1619:                             ;   in Loop: Header=BB6_1529 Depth=2
	s_delay_alu instid0(SALU_CYCLE_1)
	s_and_not1_b32 vcc_lo, exec_lo, s11
	s_cbranch_vccnz .LBB6_1625
; %bb.1620:                             ;   in Loop: Header=BB6_1529 Depth=2
	s_and_saveexec_b32 s11, s27
	s_cbranch_execz .LBB6_1624
; %bb.1621:                             ;   in Loop: Header=BB6_1529 Depth=2
	s_or_b32 s10, s7, s10
	s_delay_alu instid0(SALU_CYCLE_1)
	s_and_saveexec_b32 s27, s10
; %bb.1622:                             ;   in Loop: Header=BB6_1529 Depth=2
	v_cmp_gt_f16_e64 s10, v96, v97
	v_cmp_lt_u16_e32 vcc_lo, 0x7c00, v98
	s_delay_alu instid0(VALU_DEP_2)
	v_cndmask_b32_e64 v85, v96, v97, s10
	s_and_b32 s7, s7, vcc_lo
	s_delay_alu instid0(VALU_DEP_1) | instid1(SALU_CYCLE_1)
	v_cndmask_b32_e64 v96, v85, 0x7fff, s7
; %bb.1623:                             ;   in Loop: Header=BB6_1529 Depth=2
	s_or_b32 exec_lo, exec_lo, s27
	s_delay_alu instid0(VALU_DEP_1)
	v_mov_b32_e32 v97, v96
.LBB6_1624:                             ;   in Loop: Header=BB6_1529 Depth=2
	s_or_b32 exec_lo, exec_lo, s11
	s_delay_alu instid0(VALU_DEP_1)
	v_mov_b32_e32 v85, v97
.LBB6_1625:                             ;   in Loop: Header=BB6_1529 Depth=2
	v_and_b32_e32 v96, 0x7fff, v51
	s_waitcnt vmcnt(7) lgkmcnt(7)
	v_and_b32_e32 v97, 0x7fff, v86
	s_mov_b32 s11, -1
	s_and_not1_b32 vcc_lo, exec_lo, s25
	v_cmp_lt_u16_e64 s7, 0x7c00, v96
	s_delay_alu instid0(VALU_DEP_2) | instskip(NEXT) | instid1(VALU_DEP_1)
	v_cmp_gt_u16_e64 s10, 0x7c01, v97
                                        ; implicit-def: $vgpr96
	s_and_b32 s27, s7, s10
	s_delay_alu instid0(SALU_CYCLE_1)
	s_xor_b32 s27, s27, -1
	s_cbranch_vccnz .LBB6_1631
; %bb.1626:                             ;   in Loop: Header=BB6_1529 Depth=2
	v_mov_b32_e32 v96, v86
	s_and_saveexec_b32 s28, s27
	s_cbranch_execz .LBB6_1630
; %bb.1627:                             ;   in Loop: Header=BB6_1529 Depth=2
	v_mov_b32_e32 v96, v51
	s_or_b32 s11, s7, s10
	s_delay_alu instid0(SALU_CYCLE_1)
	s_and_saveexec_b32 s29, s11
; %bb.1628:                             ;   in Loop: Header=BB6_1529 Depth=2
	v_cmp_gt_f16_e64 s11, v51, v86
	v_cmp_lt_u16_e32 vcc_lo, 0x7c00, v97
	s_delay_alu instid0(VALU_DEP_2)
	v_cndmask_b32_e64 v96, v86, v51, s11
	s_and_b32 s11, s7, vcc_lo
	s_delay_alu instid0(VALU_DEP_1) | instid1(SALU_CYCLE_1)
	v_cndmask_b32_e64 v96, v96, 0x7fff, s11
; %bb.1629:                             ;   in Loop: Header=BB6_1529 Depth=2
	s_or_b32 exec_lo, exec_lo, s29
.LBB6_1630:                             ;   in Loop: Header=BB6_1529 Depth=2
	s_delay_alu instid0(SALU_CYCLE_1)
	s_or_b32 exec_lo, exec_lo, s28
	s_mov_b32 s11, 0
.LBB6_1631:                             ;   in Loop: Header=BB6_1529 Depth=2
	s_delay_alu instid0(SALU_CYCLE_1)
	s_and_not1_b32 vcc_lo, exec_lo, s11
	s_cbranch_vccnz .LBB6_1637
; %bb.1632:                             ;   in Loop: Header=BB6_1529 Depth=2
	s_and_saveexec_b32 s11, s27
	s_cbranch_execz .LBB6_1636
; %bb.1633:                             ;   in Loop: Header=BB6_1529 Depth=2
	s_or_b32 s10, s7, s10
	s_delay_alu instid0(SALU_CYCLE_1)
	s_and_saveexec_b32 s27, s10
; %bb.1634:                             ;   in Loop: Header=BB6_1529 Depth=2
	v_cmp_gt_f16_e64 s10, v51, v86
	v_cmp_lt_u16_e32 vcc_lo, 0x7c00, v97
	s_delay_alu instid0(VALU_DEP_2)
	v_cndmask_b32_e64 v51, v51, v86, s10
	s_and_b32 s7, s7, vcc_lo
	s_delay_alu instid0(VALU_DEP_1) | instid1(SALU_CYCLE_1)
	v_cndmask_b32_e64 v51, v51, 0x7fff, s7
; %bb.1635:                             ;   in Loop: Header=BB6_1529 Depth=2
	s_or_b32 exec_lo, exec_lo, s27
	s_delay_alu instid0(VALU_DEP_1)
	v_mov_b32_e32 v86, v51
.LBB6_1636:                             ;   in Loop: Header=BB6_1529 Depth=2
	s_or_b32 exec_lo, exec_lo, s11
	s_delay_alu instid0(VALU_DEP_1)
	v_mov_b32_e32 v96, v86
.LBB6_1637:                             ;   in Loop: Header=BB6_1529 Depth=2
	v_and_b32_e32 v51, 0x7fff, v48
	s_waitcnt vmcnt(6) lgkmcnt(6)
	v_and_b32_e32 v86, 0x7fff, v50
	s_mov_b32 s11, -1
	s_and_not1_b32 vcc_lo, exec_lo, s25
	v_cmp_lt_u16_e64 s7, 0x7c00, v51
	s_delay_alu instid0(VALU_DEP_2) | instskip(NEXT) | instid1(VALU_DEP_1)
	v_cmp_gt_u16_e64 s10, 0x7c01, v86
                                        ; implicit-def: $vgpr51
	s_and_b32 s27, s7, s10
	s_delay_alu instid0(SALU_CYCLE_1)
	s_xor_b32 s27, s27, -1
	s_cbranch_vccnz .LBB6_1643
; %bb.1638:                             ;   in Loop: Header=BB6_1529 Depth=2
	v_mov_b32_e32 v51, v50
	s_and_saveexec_b32 s28, s27
	s_cbranch_execz .LBB6_1642
; %bb.1639:                             ;   in Loop: Header=BB6_1529 Depth=2
	v_mov_b32_e32 v51, v48
	s_or_b32 s11, s7, s10
	s_delay_alu instid0(SALU_CYCLE_1)
	s_and_saveexec_b32 s29, s11
; %bb.1640:                             ;   in Loop: Header=BB6_1529 Depth=2
	v_cmp_gt_f16_e64 s11, v48, v50
	v_cmp_lt_u16_e32 vcc_lo, 0x7c00, v86
	s_delay_alu instid0(VALU_DEP_2)
	v_cndmask_b32_e64 v51, v50, v48, s11
	s_and_b32 s11, s7, vcc_lo
	s_delay_alu instid0(VALU_DEP_1) | instid1(SALU_CYCLE_1)
	v_cndmask_b32_e64 v51, v51, 0x7fff, s11
; %bb.1641:                             ;   in Loop: Header=BB6_1529 Depth=2
	s_or_b32 exec_lo, exec_lo, s29
.LBB6_1642:                             ;   in Loop: Header=BB6_1529 Depth=2
	s_delay_alu instid0(SALU_CYCLE_1)
	s_or_b32 exec_lo, exec_lo, s28
	s_mov_b32 s11, 0
.LBB6_1643:                             ;   in Loop: Header=BB6_1529 Depth=2
	s_delay_alu instid0(SALU_CYCLE_1)
	s_and_not1_b32 vcc_lo, exec_lo, s11
	s_cbranch_vccnz .LBB6_1649
; %bb.1644:                             ;   in Loop: Header=BB6_1529 Depth=2
	s_and_saveexec_b32 s11, s27
	s_cbranch_execz .LBB6_1648
; %bb.1645:                             ;   in Loop: Header=BB6_1529 Depth=2
	s_or_b32 s10, s7, s10
	s_delay_alu instid0(SALU_CYCLE_1)
	s_and_saveexec_b32 s27, s10
; %bb.1646:                             ;   in Loop: Header=BB6_1529 Depth=2
	v_cmp_gt_f16_e64 s10, v48, v50
	v_cmp_lt_u16_e32 vcc_lo, 0x7c00, v86
	s_delay_alu instid0(VALU_DEP_2)
	v_cndmask_b32_e64 v48, v48, v50, s10
	s_and_b32 s7, s7, vcc_lo
	s_delay_alu instid0(VALU_DEP_1) | instid1(SALU_CYCLE_1)
	v_cndmask_b32_e64 v48, v48, 0x7fff, s7
; %bb.1647:                             ;   in Loop: Header=BB6_1529 Depth=2
	s_or_b32 exec_lo, exec_lo, s27
	s_delay_alu instid0(VALU_DEP_1)
	v_mov_b32_e32 v50, v48
.LBB6_1648:                             ;   in Loop: Header=BB6_1529 Depth=2
	s_or_b32 exec_lo, exec_lo, s11
	s_delay_alu instid0(VALU_DEP_1)
	v_mov_b32_e32 v51, v50
.LBB6_1649:                             ;   in Loop: Header=BB6_1529 Depth=2
	v_and_b32_e32 v48, 0x7fff, v37
	s_waitcnt vmcnt(5) lgkmcnt(5)
	v_and_b32_e32 v50, 0x7fff, v39
	s_mov_b32 s11, -1
	s_and_not1_b32 vcc_lo, exec_lo, s25
	v_cmp_lt_u16_e64 s7, 0x7c00, v48
	s_delay_alu instid0(VALU_DEP_2) | instskip(NEXT) | instid1(VALU_DEP_1)
	v_cmp_gt_u16_e64 s10, 0x7c01, v50
                                        ; implicit-def: $vgpr48
	s_and_b32 s27, s7, s10
	s_delay_alu instid0(SALU_CYCLE_1)
	s_xor_b32 s27, s27, -1
	s_cbranch_vccnz .LBB6_1655
; %bb.1650:                             ;   in Loop: Header=BB6_1529 Depth=2
	v_mov_b32_e32 v48, v39
	s_and_saveexec_b32 s28, s27
	s_cbranch_execz .LBB6_1654
; %bb.1651:                             ;   in Loop: Header=BB6_1529 Depth=2
	v_mov_b32_e32 v48, v37
	s_or_b32 s11, s7, s10
	s_delay_alu instid0(SALU_CYCLE_1)
	s_and_saveexec_b32 s29, s11
; %bb.1652:                             ;   in Loop: Header=BB6_1529 Depth=2
	v_cmp_gt_f16_e64 s11, v37, v39
	v_cmp_lt_u16_e32 vcc_lo, 0x7c00, v50
	s_delay_alu instid0(VALU_DEP_2)
	v_cndmask_b32_e64 v48, v39, v37, s11
	s_and_b32 s11, s7, vcc_lo
	s_delay_alu instid0(VALU_DEP_1) | instid1(SALU_CYCLE_1)
	v_cndmask_b32_e64 v48, v48, 0x7fff, s11
; %bb.1653:                             ;   in Loop: Header=BB6_1529 Depth=2
	s_or_b32 exec_lo, exec_lo, s29
.LBB6_1654:                             ;   in Loop: Header=BB6_1529 Depth=2
	s_delay_alu instid0(SALU_CYCLE_1)
	s_or_b32 exec_lo, exec_lo, s28
	s_mov_b32 s11, 0
.LBB6_1655:                             ;   in Loop: Header=BB6_1529 Depth=2
	s_delay_alu instid0(SALU_CYCLE_1)
	s_and_not1_b32 vcc_lo, exec_lo, s11
	s_cbranch_vccnz .LBB6_1661
; %bb.1656:                             ;   in Loop: Header=BB6_1529 Depth=2
	s_and_saveexec_b32 s11, s27
	s_cbranch_execz .LBB6_1660
; %bb.1657:                             ;   in Loop: Header=BB6_1529 Depth=2
	s_or_b32 s10, s7, s10
	s_delay_alu instid0(SALU_CYCLE_1)
	s_and_saveexec_b32 s27, s10
; %bb.1658:                             ;   in Loop: Header=BB6_1529 Depth=2
	v_cmp_gt_f16_e64 s10, v37, v39
	v_cmp_lt_u16_e32 vcc_lo, 0x7c00, v50
	s_delay_alu instid0(VALU_DEP_2)
	v_cndmask_b32_e64 v37, v37, v39, s10
	s_and_b32 s7, s7, vcc_lo
	s_delay_alu instid0(VALU_DEP_1) | instid1(SALU_CYCLE_1)
	v_cndmask_b32_e64 v37, v37, 0x7fff, s7
; %bb.1659:                             ;   in Loop: Header=BB6_1529 Depth=2
	s_or_b32 exec_lo, exec_lo, s27
	s_delay_alu instid0(VALU_DEP_1)
	v_mov_b32_e32 v39, v37
.LBB6_1660:                             ;   in Loop: Header=BB6_1529 Depth=2
	s_or_b32 exec_lo, exec_lo, s11
	s_delay_alu instid0(VALU_DEP_1)
	v_mov_b32_e32 v48, v39
.LBB6_1661:                             ;   in Loop: Header=BB6_1529 Depth=2
	v_and_b32_e32 v37, 0x7fff, v34
	s_waitcnt vmcnt(4) lgkmcnt(4)
	v_and_b32_e32 v39, 0x7fff, v35
	s_mov_b32 s11, -1
	s_and_not1_b32 vcc_lo, exec_lo, s25
	v_cmp_lt_u16_e64 s7, 0x7c00, v37
	s_delay_alu instid0(VALU_DEP_2) | instskip(NEXT) | instid1(VALU_DEP_1)
	v_cmp_gt_u16_e64 s10, 0x7c01, v39
                                        ; implicit-def: $vgpr37
	s_and_b32 s27, s7, s10
	s_delay_alu instid0(SALU_CYCLE_1)
	s_xor_b32 s27, s27, -1
	s_cbranch_vccnz .LBB6_1667
; %bb.1662:                             ;   in Loop: Header=BB6_1529 Depth=2
	v_mov_b32_e32 v37, v35
	s_and_saveexec_b32 s28, s27
	s_cbranch_execz .LBB6_1666
; %bb.1663:                             ;   in Loop: Header=BB6_1529 Depth=2
	v_mov_b32_e32 v37, v34
	s_or_b32 s11, s7, s10
	s_delay_alu instid0(SALU_CYCLE_1)
	s_and_saveexec_b32 s29, s11
; %bb.1664:                             ;   in Loop: Header=BB6_1529 Depth=2
	v_cmp_gt_f16_e64 s11, v34, v35
	v_cmp_lt_u16_e32 vcc_lo, 0x7c00, v39
	s_delay_alu instid0(VALU_DEP_2)
	v_cndmask_b32_e64 v37, v35, v34, s11
	s_and_b32 s11, s7, vcc_lo
	s_delay_alu instid0(VALU_DEP_1) | instid1(SALU_CYCLE_1)
	v_cndmask_b32_e64 v37, v37, 0x7fff, s11
; %bb.1665:                             ;   in Loop: Header=BB6_1529 Depth=2
	s_or_b32 exec_lo, exec_lo, s29
.LBB6_1666:                             ;   in Loop: Header=BB6_1529 Depth=2
	s_delay_alu instid0(SALU_CYCLE_1)
	s_or_b32 exec_lo, exec_lo, s28
	s_mov_b32 s11, 0
.LBB6_1667:                             ;   in Loop: Header=BB6_1529 Depth=2
	s_delay_alu instid0(SALU_CYCLE_1)
	s_and_not1_b32 vcc_lo, exec_lo, s11
	s_cbranch_vccnz .LBB6_1673
; %bb.1668:                             ;   in Loop: Header=BB6_1529 Depth=2
	s_and_saveexec_b32 s11, s27
	s_cbranch_execz .LBB6_1672
; %bb.1669:                             ;   in Loop: Header=BB6_1529 Depth=2
	s_or_b32 s10, s7, s10
	s_delay_alu instid0(SALU_CYCLE_1)
	s_and_saveexec_b32 s27, s10
; %bb.1670:                             ;   in Loop: Header=BB6_1529 Depth=2
	v_cmp_gt_f16_e64 s10, v34, v35
	v_cmp_lt_u16_e32 vcc_lo, 0x7c00, v39
	s_delay_alu instid0(VALU_DEP_2)
	v_cndmask_b32_e64 v34, v34, v35, s10
	s_and_b32 s7, s7, vcc_lo
	s_delay_alu instid0(VALU_DEP_1) | instid1(SALU_CYCLE_1)
	v_cndmask_b32_e64 v34, v34, 0x7fff, s7
; %bb.1671:                             ;   in Loop: Header=BB6_1529 Depth=2
	s_or_b32 exec_lo, exec_lo, s27
	s_delay_alu instid0(VALU_DEP_1)
	v_mov_b32_e32 v35, v34
.LBB6_1672:                             ;   in Loop: Header=BB6_1529 Depth=2
	s_or_b32 exec_lo, exec_lo, s11
	s_delay_alu instid0(VALU_DEP_1)
	v_mov_b32_e32 v37, v35
.LBB6_1673:                             ;   in Loop: Header=BB6_1529 Depth=2
	v_and_b32_e32 v34, 0x7fff, v29
	s_waitcnt vmcnt(3) lgkmcnt(3)
	v_and_b32_e32 v35, 0x7fff, v32
	s_mov_b32 s11, -1
	s_and_not1_b32 vcc_lo, exec_lo, s25
	v_cmp_lt_u16_e64 s7, 0x7c00, v34
	s_delay_alu instid0(VALU_DEP_2) | instskip(NEXT) | instid1(VALU_DEP_1)
	v_cmp_gt_u16_e64 s10, 0x7c01, v35
                                        ; implicit-def: $vgpr34
	s_and_b32 s27, s7, s10
	s_delay_alu instid0(SALU_CYCLE_1)
	s_xor_b32 s27, s27, -1
	s_cbranch_vccnz .LBB6_1679
; %bb.1674:                             ;   in Loop: Header=BB6_1529 Depth=2
	v_mov_b32_e32 v34, v32
	s_and_saveexec_b32 s28, s27
	s_cbranch_execz .LBB6_1678
; %bb.1675:                             ;   in Loop: Header=BB6_1529 Depth=2
	v_mov_b32_e32 v34, v29
	s_or_b32 s11, s7, s10
	s_delay_alu instid0(SALU_CYCLE_1)
	s_and_saveexec_b32 s29, s11
; %bb.1676:                             ;   in Loop: Header=BB6_1529 Depth=2
	v_cmp_gt_f16_e64 s11, v29, v32
	v_cmp_lt_u16_e32 vcc_lo, 0x7c00, v35
	s_delay_alu instid0(VALU_DEP_2)
	v_cndmask_b32_e64 v34, v32, v29, s11
	s_and_b32 s11, s7, vcc_lo
	s_delay_alu instid0(VALU_DEP_1) | instid1(SALU_CYCLE_1)
	v_cndmask_b32_e64 v34, v34, 0x7fff, s11
; %bb.1677:                             ;   in Loop: Header=BB6_1529 Depth=2
	s_or_b32 exec_lo, exec_lo, s29
.LBB6_1678:                             ;   in Loop: Header=BB6_1529 Depth=2
	s_delay_alu instid0(SALU_CYCLE_1)
	s_or_b32 exec_lo, exec_lo, s28
	s_mov_b32 s11, 0
.LBB6_1679:                             ;   in Loop: Header=BB6_1529 Depth=2
	s_delay_alu instid0(SALU_CYCLE_1)
	s_and_not1_b32 vcc_lo, exec_lo, s11
	s_cbranch_vccnz .LBB6_1685
; %bb.1680:                             ;   in Loop: Header=BB6_1529 Depth=2
	s_and_saveexec_b32 s11, s27
	s_cbranch_execz .LBB6_1684
; %bb.1681:                             ;   in Loop: Header=BB6_1529 Depth=2
	s_or_b32 s10, s7, s10
	s_delay_alu instid0(SALU_CYCLE_1)
	s_and_saveexec_b32 s27, s10
; %bb.1682:                             ;   in Loop: Header=BB6_1529 Depth=2
	v_cmp_gt_f16_e64 s10, v29, v32
	v_cmp_lt_u16_e32 vcc_lo, 0x7c00, v35
	s_delay_alu instid0(VALU_DEP_2)
	v_cndmask_b32_e64 v29, v29, v32, s10
	s_and_b32 s7, s7, vcc_lo
	s_delay_alu instid0(VALU_DEP_1) | instid1(SALU_CYCLE_1)
	v_cndmask_b32_e64 v29, v29, 0x7fff, s7
; %bb.1683:                             ;   in Loop: Header=BB6_1529 Depth=2
	s_or_b32 exec_lo, exec_lo, s27
	s_delay_alu instid0(VALU_DEP_1)
	v_mov_b32_e32 v32, v29
.LBB6_1684:                             ;   in Loop: Header=BB6_1529 Depth=2
	s_or_b32 exec_lo, exec_lo, s11
	s_delay_alu instid0(VALU_DEP_1)
	v_mov_b32_e32 v34, v32
.LBB6_1685:                             ;   in Loop: Header=BB6_1529 Depth=2
	v_and_b32_e32 v29, 0x7fff, v26
	s_waitcnt vmcnt(2) lgkmcnt(2)
	v_and_b32_e32 v32, 0x7fff, v27
	s_mov_b32 s11, -1
	s_and_not1_b32 vcc_lo, exec_lo, s25
	v_cmp_lt_u16_e64 s7, 0x7c00, v29
	s_delay_alu instid0(VALU_DEP_2) | instskip(NEXT) | instid1(VALU_DEP_1)
	v_cmp_gt_u16_e64 s10, 0x7c01, v32
                                        ; implicit-def: $vgpr29
	s_and_b32 s27, s7, s10
	s_delay_alu instid0(SALU_CYCLE_1)
	s_xor_b32 s27, s27, -1
	s_cbranch_vccnz .LBB6_1691
; %bb.1686:                             ;   in Loop: Header=BB6_1529 Depth=2
	v_mov_b32_e32 v29, v27
	s_and_saveexec_b32 s28, s27
	s_cbranch_execz .LBB6_1690
; %bb.1687:                             ;   in Loop: Header=BB6_1529 Depth=2
	v_mov_b32_e32 v29, v26
	s_or_b32 s11, s7, s10
	s_delay_alu instid0(SALU_CYCLE_1)
	s_and_saveexec_b32 s29, s11
; %bb.1688:                             ;   in Loop: Header=BB6_1529 Depth=2
	v_cmp_gt_f16_e64 s11, v26, v27
	v_cmp_lt_u16_e32 vcc_lo, 0x7c00, v32
	s_delay_alu instid0(VALU_DEP_2)
	v_cndmask_b32_e64 v29, v27, v26, s11
	s_and_b32 s11, s7, vcc_lo
	s_delay_alu instid0(VALU_DEP_1) | instid1(SALU_CYCLE_1)
	v_cndmask_b32_e64 v29, v29, 0x7fff, s11
; %bb.1689:                             ;   in Loop: Header=BB6_1529 Depth=2
	s_or_b32 exec_lo, exec_lo, s29
.LBB6_1690:                             ;   in Loop: Header=BB6_1529 Depth=2
	s_delay_alu instid0(SALU_CYCLE_1)
	s_or_b32 exec_lo, exec_lo, s28
	s_mov_b32 s11, 0
.LBB6_1691:                             ;   in Loop: Header=BB6_1529 Depth=2
	s_delay_alu instid0(SALU_CYCLE_1)
	s_and_not1_b32 vcc_lo, exec_lo, s11
	s_cbranch_vccnz .LBB6_1697
; %bb.1692:                             ;   in Loop: Header=BB6_1529 Depth=2
	s_and_saveexec_b32 s11, s27
	s_cbranch_execz .LBB6_1696
; %bb.1693:                             ;   in Loop: Header=BB6_1529 Depth=2
	s_or_b32 s10, s7, s10
	s_delay_alu instid0(SALU_CYCLE_1)
	s_and_saveexec_b32 s27, s10
; %bb.1694:                             ;   in Loop: Header=BB6_1529 Depth=2
	v_cmp_gt_f16_e64 s10, v26, v27
	v_cmp_lt_u16_e32 vcc_lo, 0x7c00, v32
	s_delay_alu instid0(VALU_DEP_2)
	v_cndmask_b32_e64 v26, v26, v27, s10
	s_and_b32 s7, s7, vcc_lo
	s_delay_alu instid0(VALU_DEP_1) | instid1(SALU_CYCLE_1)
	v_cndmask_b32_e64 v26, v26, 0x7fff, s7
; %bb.1695:                             ;   in Loop: Header=BB6_1529 Depth=2
	s_or_b32 exec_lo, exec_lo, s27
	s_delay_alu instid0(VALU_DEP_1)
	v_mov_b32_e32 v27, v26
.LBB6_1696:                             ;   in Loop: Header=BB6_1529 Depth=2
	s_or_b32 exec_lo, exec_lo, s11
	s_delay_alu instid0(VALU_DEP_1)
	v_mov_b32_e32 v29, v27
.LBB6_1697:                             ;   in Loop: Header=BB6_1529 Depth=2
	v_and_b32_e32 v26, 0x7fff, v23
	s_waitcnt vmcnt(1) lgkmcnt(1)
	v_and_b32_e32 v27, 0x7fff, v24
	s_mov_b32 s11, -1
	s_and_not1_b32 vcc_lo, exec_lo, s25
	v_cmp_lt_u16_e64 s7, 0x7c00, v26
	s_delay_alu instid0(VALU_DEP_2) | instskip(NEXT) | instid1(VALU_DEP_1)
	v_cmp_gt_u16_e64 s10, 0x7c01, v27
                                        ; implicit-def: $vgpr26
	s_and_b32 s27, s7, s10
	s_delay_alu instid0(SALU_CYCLE_1)
	s_xor_b32 s27, s27, -1
	s_cbranch_vccnz .LBB6_1703
; %bb.1698:                             ;   in Loop: Header=BB6_1529 Depth=2
	v_mov_b32_e32 v26, v24
	s_and_saveexec_b32 s28, s27
	s_cbranch_execz .LBB6_1702
; %bb.1699:                             ;   in Loop: Header=BB6_1529 Depth=2
	v_mov_b32_e32 v26, v23
	s_or_b32 s11, s7, s10
	s_delay_alu instid0(SALU_CYCLE_1)
	s_and_saveexec_b32 s29, s11
; %bb.1700:                             ;   in Loop: Header=BB6_1529 Depth=2
	v_cmp_gt_f16_e64 s11, v23, v24
	v_cmp_lt_u16_e32 vcc_lo, 0x7c00, v27
	s_delay_alu instid0(VALU_DEP_2)
	v_cndmask_b32_e64 v26, v24, v23, s11
	s_and_b32 s11, s7, vcc_lo
	s_delay_alu instid0(VALU_DEP_1) | instid1(SALU_CYCLE_1)
	v_cndmask_b32_e64 v26, v26, 0x7fff, s11
; %bb.1701:                             ;   in Loop: Header=BB6_1529 Depth=2
	s_or_b32 exec_lo, exec_lo, s29
.LBB6_1702:                             ;   in Loop: Header=BB6_1529 Depth=2
	s_delay_alu instid0(SALU_CYCLE_1)
	s_or_b32 exec_lo, exec_lo, s28
	s_mov_b32 s11, 0
.LBB6_1703:                             ;   in Loop: Header=BB6_1529 Depth=2
	s_delay_alu instid0(SALU_CYCLE_1)
	s_and_not1_b32 vcc_lo, exec_lo, s11
	s_cbranch_vccnz .LBB6_1709
; %bb.1704:                             ;   in Loop: Header=BB6_1529 Depth=2
	s_and_saveexec_b32 s11, s27
	s_cbranch_execz .LBB6_1708
; %bb.1705:                             ;   in Loop: Header=BB6_1529 Depth=2
	s_or_b32 s10, s7, s10
	s_delay_alu instid0(SALU_CYCLE_1)
	s_and_saveexec_b32 s27, s10
; %bb.1706:                             ;   in Loop: Header=BB6_1529 Depth=2
	v_cmp_gt_f16_e64 s10, v23, v24
	v_cmp_lt_u16_e32 vcc_lo, 0x7c00, v27
	s_delay_alu instid0(VALU_DEP_2)
	v_cndmask_b32_e64 v23, v23, v24, s10
	s_and_b32 s7, s7, vcc_lo
	s_delay_alu instid0(VALU_DEP_1) | instid1(SALU_CYCLE_1)
	v_cndmask_b32_e64 v23, v23, 0x7fff, s7
; %bb.1707:                             ;   in Loop: Header=BB6_1529 Depth=2
	s_or_b32 exec_lo, exec_lo, s27
	s_delay_alu instid0(VALU_DEP_1)
	v_mov_b32_e32 v24, v23
.LBB6_1708:                             ;   in Loop: Header=BB6_1529 Depth=2
	s_or_b32 exec_lo, exec_lo, s11
	s_delay_alu instid0(VALU_DEP_1)
	v_mov_b32_e32 v26, v24
.LBB6_1709:                             ;   in Loop: Header=BB6_1529 Depth=2
	v_and_b32_e32 v23, 0x7fff, v20
	s_waitcnt vmcnt(0) lgkmcnt(0)
	v_and_b32_e32 v24, 0x7fff, v21
	s_mov_b32 s11, -1
	s_and_not1_b32 vcc_lo, exec_lo, s25
	v_cmp_lt_u16_e64 s7, 0x7c00, v23
	s_delay_alu instid0(VALU_DEP_2) | instskip(NEXT) | instid1(VALU_DEP_1)
	v_cmp_gt_u16_e64 s10, 0x7c01, v24
                                        ; implicit-def: $vgpr23
	s_and_b32 s27, s7, s10
	s_delay_alu instid0(SALU_CYCLE_1)
	s_xor_b32 s27, s27, -1
	s_cbranch_vccnz .LBB6_1715
; %bb.1710:                             ;   in Loop: Header=BB6_1529 Depth=2
	v_mov_b32_e32 v23, v21
	s_and_saveexec_b32 s28, s27
	s_cbranch_execz .LBB6_1714
; %bb.1711:                             ;   in Loop: Header=BB6_1529 Depth=2
	v_mov_b32_e32 v23, v20
	s_or_b32 s11, s7, s10
	s_delay_alu instid0(SALU_CYCLE_1)
	s_and_saveexec_b32 s29, s11
; %bb.1712:                             ;   in Loop: Header=BB6_1529 Depth=2
	v_cmp_gt_f16_e64 s11, v20, v21
	v_cmp_lt_u16_e32 vcc_lo, 0x7c00, v24
	s_delay_alu instid0(VALU_DEP_2)
	v_cndmask_b32_e64 v23, v21, v20, s11
	s_and_b32 s11, s7, vcc_lo
	s_delay_alu instid0(VALU_DEP_1) | instid1(SALU_CYCLE_1)
	v_cndmask_b32_e64 v23, v23, 0x7fff, s11
; %bb.1713:                             ;   in Loop: Header=BB6_1529 Depth=2
	s_or_b32 exec_lo, exec_lo, s29
.LBB6_1714:                             ;   in Loop: Header=BB6_1529 Depth=2
	s_delay_alu instid0(SALU_CYCLE_1)
	s_or_b32 exec_lo, exec_lo, s28
	s_mov_b32 s11, 0
.LBB6_1715:                             ;   in Loop: Header=BB6_1529 Depth=2
	s_delay_alu instid0(SALU_CYCLE_1)
	s_and_not1_b32 vcc_lo, exec_lo, s11
	s_cbranch_vccnz .LBB6_1528
; %bb.1716:                             ;   in Loop: Header=BB6_1529 Depth=2
	s_and_saveexec_b32 s11, s27
	s_cbranch_execz .LBB6_1527
; %bb.1717:                             ;   in Loop: Header=BB6_1529 Depth=2
	s_or_b32 s10, s7, s10
	s_delay_alu instid0(SALU_CYCLE_1)
	s_and_saveexec_b32 s27, s10
	s_cbranch_execz .LBB6_1526
; %bb.1718:                             ;   in Loop: Header=BB6_1529 Depth=2
	v_cmp_gt_f16_e64 s10, v20, v21
	v_cmp_lt_u16_e32 vcc_lo, 0x7c00, v24
	s_delay_alu instid0(VALU_DEP_2)
	v_cndmask_b32_e64 v20, v20, v21, s10
	s_and_b32 s7, s7, vcc_lo
	s_delay_alu instid0(VALU_DEP_1) | instid1(SALU_CYCLE_1)
	v_cndmask_b32_e64 v20, v20, 0x7fff, s7
	s_branch .LBB6_1526
.LBB6_1719:                             ;   in Loop: Header=BB6_945 Depth=1
	s_or_b32 exec_lo, exec_lo, s26
.LBB6_1720:                             ;   in Loop: Header=BB6_945 Depth=1
	s_delay_alu instid0(SALU_CYCLE_1) | instskip(SKIP_1) | instid1(VALU_DEP_1)
	s_or_b32 exec_lo, exec_lo, s24
	v_lshlrev_b32_e32 v10, 10, v19
	v_cmp_ne_u32_e32 vcc_lo, v144, v10
	s_and_b32 exec_lo, exec_lo, vcc_lo
	s_cbranch_execz .LBB6_1737
; %bb.1721:                             ;   in Loop: Header=BB6_945 Depth=1
	v_ashrrev_i32_e32 v11, 31, v17
	v_lshlrev_b32_e32 v12, 5, v18
	s_delay_alu instid0(VALU_DEP_2) | instskip(NEXT) | instid1(VALU_DEP_1)
	v_lshrrev_b32_e32 v11, 27, v11
	v_add_nc_u32_e32 v11, v17, v11
	s_delay_alu instid0(VALU_DEP_1) | instskip(NEXT) | instid1(VALU_DEP_1)
	v_and_b32_e32 v11, 0xffffffe0, v11
	v_sub_nc_u32_e32 v11, v17, v11
	s_delay_alu instid0(VALU_DEP_1) | instskip(NEXT) | instid1(VALU_DEP_1)
	v_sub_nc_u32_e32 v11, v11, v12
	v_ashrrev_i32_e32 v12, 31, v11
	s_delay_alu instid0(VALU_DEP_1) | instskip(NEXT) | instid1(VALU_DEP_1)
	v_lshrrev_b32_e32 v12, 27, v12
	v_add_nc_u32_e32 v12, v11, v12
	s_delay_alu instid0(VALU_DEP_1) | instskip(SKIP_1) | instid1(VALU_DEP_2)
	v_and_b32_e32 v13, 0x7fffffe0, v12
	v_lshlrev_b32_e32 v12, 1, v12
	v_sub_nc_u32_e32 v11, v11, v13
	s_delay_alu instid0(VALU_DEP_2) | instskip(NEXT) | instid1(VALU_DEP_2)
	v_and_b32_e32 v12, 0xffffffc0, v12
	v_lshlrev_b32_e32 v11, 1, v11
	s_delay_alu instid0(VALU_DEP_1) | instskip(NEXT) | instid1(VALU_DEP_1)
	v_add3_u32 v10, v12, v11, v10
	v_sub_nc_u32_e32 v17, v144, v10
	s_delay_alu instid0(VALU_DEP_1)
	v_cmp_lt_i32_e32 vcc_lo, 1, v17
	s_and_b32 exec_lo, exec_lo, vcc_lo
	s_cbranch_execz .LBB6_1737
; %bb.1722:                             ;   in Loop: Header=BB6_945 Depth=1
	s_cbranch_execnz .LBB6_2276
; %bb.1723:                             ;   in Loop: Header=BB6_945 Depth=1
	ds_load_b128 v[11:14], v0
	ds_load_b64 v[18:19], v0
	v_add_nc_u32_e32 v15, v10, v16
	s_bitcmp1_b32 s23, 0
	s_mov_b32 s23, 0
	s_cselect_b32 s24, -1, 0
	s_delay_alu instid0(VALU_DEP_1) | instskip(SKIP_2) | instid1(VALU_DEP_2)
	v_ashrrev_i32_e32 v16, 31, v15
	s_waitcnt lgkmcnt(1)
	v_add_co_u32 v10, vcc_lo, v11, v15
	v_add_co_ci_u32_e32 v11, vcc_lo, v12, v16, vcc_lo
	v_add_co_u32 v12, vcc_lo, v13, v15
	v_add_co_ci_u32_e32 v13, vcc_lo, v14, v16, vcc_lo
	s_waitcnt lgkmcnt(0)
	v_add_co_u32 v14, vcc_lo, v18, v15
	v_add_co_ci_u32_e32 v15, vcc_lo, v19, v16, vcc_lo
	s_branch .LBB6_1727
.LBB6_1724:                             ;   in Loop: Header=BB6_1727 Depth=2
	s_or_b32 exec_lo, exec_lo, s25
	s_delay_alu instid0(VALU_DEP_1)
	v_mov_b32_e32 v18, v16
.LBB6_1725:                             ;   in Loop: Header=BB6_1727 Depth=2
	s_or_b32 exec_lo, exec_lo, s11
	s_delay_alu instid0(VALU_DEP_1)
	v_mov_b32_e32 v20, v18
.LBB6_1726:                             ;   in Loop: Header=BB6_1727 Depth=2
	v_add_co_u32 v10, vcc_lo, v10, v131
	v_sub_nc_u32_e32 v17, v17, v114
	v_add_co_ci_u32_e32 v11, vcc_lo, v11, v132, vcc_lo
	v_add_co_u32 v12, vcc_lo, v12, v131
	v_add_co_ci_u32_e32 v13, vcc_lo, v13, v132, vcc_lo
	flat_store_b16 v[14:15], v20 glc slc dlc
	v_cmp_gt_i32_e32 vcc_lo, 2, v17
	v_add_co_u32 v14, s7, v14, v131
	s_delay_alu instid0(VALU_DEP_1) | instskip(SKIP_1) | instid1(SALU_CYCLE_1)
	v_add_co_ci_u32_e64 v15, s7, v15, v132, s7
	s_or_b32 s23, vcc_lo, s23
	s_and_not1_b32 exec_lo, exec_lo, s23
	s_cbranch_execz .LBB6_1737
.LBB6_1727:                             ;   Parent Loop BB6_945 Depth=1
                                        ; =>  This Inner Loop Header: Depth=2
	flat_load_u16 v16, v[10:11] slc dlc
	flat_load_u16 v18, v[12:13] slc dlc
	s_mov_b32 s11, -1
	s_and_b32 vcc_lo, exec_lo, s24
	s_waitcnt vmcnt(1) lgkmcnt(1)
	v_and_b32_e32 v20, 0x7fff, v16
	s_waitcnt vmcnt(0) lgkmcnt(0)
	v_and_b32_e32 v19, 0x7fff, v18
	s_delay_alu instid0(VALU_DEP_2) | instskip(NEXT) | instid1(VALU_DEP_2)
	v_cmp_lt_u16_e64 s7, 0x7c00, v20
	v_cmp_gt_u16_e64 s10, 0x7c01, v19
                                        ; implicit-def: $vgpr20
	s_delay_alu instid0(VALU_DEP_1) | instskip(NEXT) | instid1(SALU_CYCLE_1)
	s_and_b32 s25, s7, s10
	s_xor_b32 s25, s25, -1
	s_cbranch_vccz .LBB6_1733
; %bb.1728:                             ;   in Loop: Header=BB6_1727 Depth=2
	v_mov_b32_e32 v20, v18
	s_and_saveexec_b32 s26, s25
	s_cbranch_execz .LBB6_1732
; %bb.1729:                             ;   in Loop: Header=BB6_1727 Depth=2
	v_mov_b32_e32 v20, v16
	s_or_b32 s11, s7, s10
	s_delay_alu instid0(SALU_CYCLE_1)
	s_and_saveexec_b32 s27, s11
; %bb.1730:                             ;   in Loop: Header=BB6_1727 Depth=2
	v_cmp_gt_f16_e64 s11, v16, v18
	v_cmp_lt_u16_e32 vcc_lo, 0x7c00, v19
	s_delay_alu instid0(VALU_DEP_2)
	v_cndmask_b32_e64 v20, v18, v16, s11
	s_and_b32 s11, s7, vcc_lo
	s_delay_alu instid0(VALU_DEP_1) | instid1(SALU_CYCLE_1)
	v_cndmask_b32_e64 v20, v20, 0x7fff, s11
; %bb.1731:                             ;   in Loop: Header=BB6_1727 Depth=2
	s_or_b32 exec_lo, exec_lo, s27
.LBB6_1732:                             ;   in Loop: Header=BB6_1727 Depth=2
	s_delay_alu instid0(SALU_CYCLE_1)
	s_or_b32 exec_lo, exec_lo, s26
	s_mov_b32 s11, 0
.LBB6_1733:                             ;   in Loop: Header=BB6_1727 Depth=2
	s_delay_alu instid0(SALU_CYCLE_1)
	s_and_not1_b32 vcc_lo, exec_lo, s11
	s_cbranch_vccnz .LBB6_1726
; %bb.1734:                             ;   in Loop: Header=BB6_1727 Depth=2
	s_and_saveexec_b32 s11, s25
	s_cbranch_execz .LBB6_1725
; %bb.1735:                             ;   in Loop: Header=BB6_1727 Depth=2
	s_or_b32 s10, s7, s10
	s_delay_alu instid0(SALU_CYCLE_1)
	s_and_saveexec_b32 s25, s10
	s_cbranch_execz .LBB6_1724
; %bb.1736:                             ;   in Loop: Header=BB6_1727 Depth=2
	v_cmp_gt_f16_e64 s10, v16, v18
	v_cmp_lt_u16_e32 vcc_lo, 0x7c00, v19
	s_delay_alu instid0(VALU_DEP_2)
	v_cndmask_b32_e64 v16, v16, v18, s10
	s_and_b32 s7, s7, vcc_lo
	s_delay_alu instid0(VALU_DEP_1) | instid1(SALU_CYCLE_1)
	v_cndmask_b32_e64 v16, v16, 0x7fff, s7
	s_branch .LBB6_1724
.LBB6_1737:                             ;   in Loop: Header=BB6_945 Depth=1
	s_or_b32 exec_lo, exec_lo, s12
	v_cmp_ne_u32_e64 s7, 0, v135
.LBB6_1738:                             ;   in Loop: Header=BB6_945 Depth=1
	s_and_saveexec_b32 s10, s2
	s_cbranch_execz .LBB6_1760
; %bb.1739:                             ;   in Loop: Header=BB6_945 Depth=1
	s_and_saveexec_b32 s11, s3
	s_delay_alu instid0(SALU_CYCLE_1)
	s_xor_b32 s11, exec_lo, s11
	s_cbranch_execz .LBB6_1757
; %bb.1740:                             ;   in Loop: Header=BB6_945 Depth=1
	s_and_saveexec_b32 s12, s4
	s_cbranch_execz .LBB6_1756
; %bb.1741:                             ;   in Loop: Header=BB6_945 Depth=1
	s_mov_b32 s24, exec_lo
	s_mov_b32 s23, exec_lo
	v_mbcnt_lo_u32_b32 v10, s24, 0
	s_waitcnt lgkmcnt(0)
	s_waitcnt_vscnt null, 0x0
	buffer_gl1_inv
	buffer_gl0_inv
	v_cmpx_eq_u32_e32 0, v10
	s_cbranch_execz .LBB6_1743
; %bb.1742:                             ;   in Loop: Header=BB6_945 Depth=1
	s_bcnt1_i32_b32 s24, s24
	s_delay_alu instid0(SALU_CYCLE_1)
	v_mov_b32_e32 v29, s24
	ds_add_u64 v0, v[29:30]
	s_cbranch_execnz .LBB6_2268
.LBB6_1743:                             ;   in Loop: Header=BB6_945 Depth=1
	s_or_b32 exec_lo, exec_lo, s23
	s_cbranch_execnz .LBB6_2248
; %bb.1744:                             ;   in Loop: Header=BB6_945 Depth=1
	ds_load_b64 v[10:11], v0
	v_add_co_u32 v68, vcc_lo, v68, v87
	v_add_co_ci_u32_e32 v69, vcc_lo, 0, v69, vcc_lo
	s_mov_b32 s23, exec_lo
	s_waitcnt lgkmcnt(0)
	s_delay_alu instid0(VALU_DEP_1)
	v_cmpx_lt_u64_e64 v[10:11], v[68:69]
	s_cbranch_execz .LBB6_1755
; %bb.1745:                             ;   in Loop: Header=BB6_945 Depth=1
	s_mov_b32 s24, 0
	s_mov_b32 s27, 0
                                        ; implicit-def: $sgpr25
                                        ; implicit-def: $sgpr26
	s_branch .LBB6_1747
.LBB6_1746:                             ;   in Loop: Header=BB6_1747 Depth=2
	s_or_b32 exec_lo, exec_lo, vcc_hi
	s_delay_alu instid0(SALU_CYCLE_1) | instskip(NEXT) | instid1(SALU_CYCLE_1)
	s_and_b32 s28, exec_lo, s29
	s_or_b32 s24, s28, s24
	s_and_not1_b32 s25, s25, exec_lo
	s_and_b32 s28, s26, exec_lo
	s_delay_alu instid0(SALU_CYCLE_1)
	s_or_b32 s25, s25, s28
	s_and_not1_b32 exec_lo, exec_lo, s24
	s_cbranch_execz .LBB6_1753
.LBB6_1747:                             ;   Parent Loop BB6_945 Depth=1
                                        ; =>  This Inner Loop Header: Depth=2
	s_add_i32 s27, s27, 1
                                        ; implicit-def: $sgpr29
	s_delay_alu instid0(SALU_CYCLE_1) | instskip(SKIP_1) | instid1(SALU_CYCLE_1)
	s_cmpk_lg_i32 s27, 0x2710
	s_cselect_b32 s28, -1, 0
	s_and_b32 vcc_lo, exec_lo, s28
	s_cbranch_vccz .LBB6_1751
.LBB6_1748:                             ;   in Loop: Header=BB6_1747 Depth=2
	s_and_not1_b32 s26, s26, exec_lo
	s_and_b32 vcc_lo, s29, exec_lo
	s_mov_b32 s29, -1
	s_or_b32 s26, s26, vcc_lo
	s_and_saveexec_b32 vcc_hi, s28
	s_cbranch_execz .LBB6_1746
; %bb.1749:                             ;   in Loop: Header=BB6_1747 Depth=2
	s_sleep 1
	s_cbranch_execnz .LBB6_2284
; %bb.1750:                             ;   in Loop: Header=BB6_1747 Depth=2
	ds_load_b64 v[10:11], v0
	s_and_not1_b32 s26, s26, exec_lo
	s_waitcnt lgkmcnt(0)
	v_cmp_ge_u64_e32 vcc_lo, v[10:11], v[68:69]
	s_or_not1_b32 s29, vcc_lo, exec_lo
	s_branch .LBB6_1746
.LBB6_1751:                             ;   in Loop: Header=BB6_1747 Depth=2
	s_cbranch_execnz .LBB6_2290
; %bb.1752:                             ;   in Loop: Header=BB6_1747 Depth=2
	ds_load_b64 v[10:11], v0
	s_and_not1_b32 s28, s28, exec_lo
	s_mov_b32 s27, 0
	s_mov_b32 s29, -1
	s_waitcnt lgkmcnt(0)
	flat_load_b32 v10, v[10:11] glc
	s_waitcnt vmcnt(0) lgkmcnt(0)
	buffer_gl1_inv
	buffer_gl0_inv
	v_cmp_eq_u32_e32 vcc_lo, 0, v10
	s_and_b32 vcc_lo, vcc_lo, exec_lo
	s_delay_alu instid0(SALU_CYCLE_1)
	s_or_b32 s28, s28, vcc_lo
	s_branch .LBB6_1748
.LBB6_1753:                             ;   in Loop: Header=BB6_945 Depth=1
	s_or_b32 exec_lo, exec_lo, s24
	s_and_saveexec_b32 s24, s25
	s_delay_alu instid0(SALU_CYCLE_1)
	s_xor_b32 s24, exec_lo, s24
	s_cbranch_execz .LBB6_1755
; %bb.1754:                             ;   in Loop: Header=BB6_945 Depth=1
	ds_store_b32 v0, v133
	s_cbranch_execnz .LBB6_2314
.LBB6_1755:                             ;   in Loop: Header=BB6_945 Depth=1
	s_or_b32 exec_lo, exec_lo, s23
	;;#ASMSTART
	s_wakeup
	;;#ASMEND
.LBB6_1756:                             ;   in Loop: Header=BB6_945 Depth=1
	s_or_b32 exec_lo, exec_lo, s12
.LBB6_1757:                             ;   in Loop: Header=BB6_945 Depth=1
	s_and_not1_saveexec_b32 s11, s11
	s_cbranch_execz .LBB6_1759
; %bb.1758:                             ;   in Loop: Header=BB6_945 Depth=1
	s_waitcnt lgkmcnt(0)
	s_waitcnt_vscnt null, 0x0
	buffer_gl1_inv
	buffer_gl0_inv
	s_barrier
.LBB6_1759:                             ;   in Loop: Header=BB6_945 Depth=1
	s_or_b32 exec_lo, exec_lo, s11
.LBB6_1760:                             ;   in Loop: Header=BB6_945 Depth=1
	s_delay_alu instid0(SALU_CYCLE_1) | instskip(SKIP_1) | instid1(VALU_DEP_1)
	s_or_b32 exec_lo, exec_lo, s10
	v_and_b32_e32 v10, 16, v102
	v_cmp_ne_u32_e32 vcc_lo, 0, v10
	s_and_b32 s10, vcc_lo, s7
	s_delay_alu instid0(SALU_CYCLE_1)
	s_and_saveexec_b32 s7, s10
	s_cbranch_execz .LBB6_1762
; %bb.1761:                             ;   in Loop: Header=BB6_945 Depth=1
	s_waitcnt lgkmcnt(0)
	s_waitcnt_vscnt null, 0x0
	buffer_gl1_inv
	buffer_gl0_inv
.LBB6_1762:                             ;   in Loop: Header=BB6_945 Depth=1
	s_or_b32 exec_lo, exec_lo, s7
	v_and_b32_e32 v10, 32, v102
	s_mov_b32 s7, exec_lo
	s_delay_alu instid0(VALU_DEP_1)
	v_cmpx_ne_u32_e32 0, v10
	s_cbranch_execz .LBB6_1764
; %bb.1763:                             ;   in Loop: Header=BB6_945 Depth=1
	v_add_co_u32 v8, vcc_lo, v8, 1
	v_add_co_ci_u32_e32 v9, vcc_lo, 0, v9, vcc_lo
	s_waitcnt lgkmcnt(0)
	s_waitcnt_vscnt null, 0x0
	flat_store_b64 v[54:55], v[8:9]
.LBB6_1764:                             ;   in Loop: Header=BB6_945 Depth=1
	s_or_b32 exec_lo, exec_lo, s7
	v_mov_b32_e32 v14, v134
.LBB6_1765:                             ;   in Loop: Header=BB6_945 Depth=1
	s_or_b32 exec_lo, exec_lo, s22
	s_and_saveexec_b32 s10, s21
	s_cbranch_execz .LBB6_1818
; %bb.1766:                             ;   in Loop: Header=BB6_945 Depth=1
	v_and_b32_e32 v10, 4, v102
	s_mov_b32 s11, -1
	s_mov_b32 s7, exec_lo
	s_delay_alu instid0(VALU_DEP_1)
	v_cmpx_ne_u32_e32 0, v10
	s_cbranch_execz .LBB6_1780
; %bb.1767:                             ;   in Loop: Header=BB6_945 Depth=1
	s_waitcnt lgkmcnt(0)
	v_add_co_u32 v10, vcc_lo, v8, 1
	v_add_co_ci_u32_e32 v11, vcc_lo, 0, v9, vcc_lo
	v_mov_b32_e32 v12, 1
	s_mov_b32 s11, exec_lo
	s_delay_alu instid0(VALU_DEP_2)
	v_cmpx_lt_u64_e64 v[66:67], v[10:11]
	s_cbranch_execz .LBB6_1779
; %bb.1768:                             ;   in Loop: Header=BB6_945 Depth=1
	v_mov_b32_e32 v12, 0
	s_mov_b32 s12, 0
                                        ; implicit-def: $sgpr21
	s_branch .LBB6_1772
.LBB6_1769:                             ;   in Loop: Header=BB6_1772 Depth=2
	s_or_b32 exec_lo, exec_lo, s25
	v_mov_b32_e32 v13, 0
	s_or_not1_b32 s24, s24, exec_lo
.LBB6_1770:                             ;   in Loop: Header=BB6_1772 Depth=2
	s_or_b32 exec_lo, exec_lo, s23
	s_delay_alu instid0(VALU_DEP_1) | instskip(SKIP_2) | instid1(SALU_CYCLE_1)
	v_mov_b32_e32 v12, v13
	s_and_not1_b32 s21, s21, exec_lo
	s_and_b32 s23, s24, exec_lo
	s_or_b32 s21, s21, s23
.LBB6_1771:                             ;   in Loop: Header=BB6_1772 Depth=2
	s_or_b32 exec_lo, exec_lo, s22
	s_waitcnt vmcnt(0) lgkmcnt(0)
	v_cmp_ge_u64_e32 vcc_lo, v[66:67], v[10:11]
	s_xor_b32 s22, s21, -1
	s_delay_alu instid0(SALU_CYCLE_1) | instskip(NEXT) | instid1(SALU_CYCLE_1)
	s_or_b32 s22, s22, vcc_lo
	s_and_b32 s22, exec_lo, s22
	s_delay_alu instid0(SALU_CYCLE_1) | instskip(NEXT) | instid1(SALU_CYCLE_1)
	s_or_b32 s12, s22, s12
	s_and_not1_b32 exec_lo, exec_lo, s12
	s_cbranch_execz .LBB6_1778
.LBB6_1772:                             ;   Parent Loop BB6_945 Depth=1
                                        ; =>  This Inner Loop Header: Depth=2
	s_sleep 1
	flat_load_b64 v[66:67], v[54:55] glc
	v_and_b32_e32 v13, 64, v102
	s_and_not1_b32 s21, s21, exec_lo
	s_mov_b32 s22, exec_lo
	s_delay_alu instid0(VALU_DEP_1)
	v_cmpx_eq_u32_e32 0, v13
	s_cbranch_execz .LBB6_1771
; %bb.1773:                             ;   in Loop: Header=BB6_1772 Depth=2
	v_add_nc_u32_e32 v13, 1, v12
	s_mov_b32 s24, -1
	s_mov_b32 s23, exec_lo
	v_cmpx_lt_i32_e32 0x270e, v12
	s_cbranch_execz .LBB6_1770
; %bb.1774:                             ;   in Loop: Header=BB6_1772 Depth=2
	s_cbranch_execnz .LBB6_2140
; %bb.1775:                             ;   in Loop: Header=BB6_1772 Depth=2
	ds_load_b64 v[12:13], v0
	s_mov_b32 s25, exec_lo
	s_waitcnt vmcnt(0) lgkmcnt(0)
	s_waitcnt_vscnt null, 0x0
	flat_load_b32 v12, v[12:13] glc
	s_waitcnt vmcnt(0) lgkmcnt(0)
	buffer_gl1_inv
	buffer_gl0_inv
	v_cmpx_ne_u32_e32 0, v12
	s_cbranch_execz .LBB6_1769
; %bb.1776:                             ;   in Loop: Header=BB6_1772 Depth=2
	ds_store_b32 v0, v12
	s_cbranch_execnz .LBB6_2174
; %bb.1777:                             ;   in Loop: Header=BB6_1772 Depth=2
	v_or_b32_e32 v102, 64, v102
	s_xor_b32 s24, exec_lo, -1
	s_branch .LBB6_1769
.LBB6_1778:                             ;   in Loop: Header=BB6_945 Depth=1
	s_or_b32 exec_lo, exec_lo, s12
	v_and_b32_e32 v12, 4, v102
.LBB6_1779:                             ;   in Loop: Header=BB6_945 Depth=1
	s_or_b32 exec_lo, exec_lo, s11
	s_delay_alu instid0(VALU_DEP_1)
	v_cmp_eq_u32_e32 vcc_lo, 0, v12
	;;#ASMSTART
	s_wakeup
	;;#ASMEND
	s_or_not1_b32 s11, vcc_lo, exec_lo
.LBB6_1780:                             ;   in Loop: Header=BB6_945 Depth=1
	s_or_b32 exec_lo, exec_lo, s7
	s_xor_b32 s7, s11, -1
	s_delay_alu instid0(SALU_CYCLE_1)
	s_and_saveexec_b32 s11, s7
	s_cbranch_execz .LBB6_1790
; %bb.1781:                             ;   in Loop: Header=BB6_945 Depth=1
	v_and_b32_e32 v10, 0x100, v102
	s_waitcnt lgkmcnt(0)
	v_and_b32_e32 v15, 7, v8
	s_mov_b32 s7, -1
	s_delay_alu instid0(VALU_DEP_2)
	v_cmp_ne_u32_e32 vcc_lo, 0, v10
                                        ; implicit-def: $vgpr10_vgpr11
	s_and_saveexec_b32 s12, vcc_lo
	s_cbranch_execz .LBB6_1785
; %bb.1782:                             ;   in Loop: Header=BB6_945 Depth=1
	v_mad_u64_u32 v[12:13], null, v15, 24, v[6:7]
	flat_load_b32 v10, v[12:13]
	s_waitcnt vmcnt(0) lgkmcnt(0)
	v_cmp_ne_u32_e32 vcc_lo, 1, v10
	v_cmp_eq_u32_e64 s7, 1, v10
                                        ; implicit-def: $vgpr10_vgpr11
	s_delay_alu instid0(VALU_DEP_1)
	s_and_saveexec_b32 s21, s7
	s_cbranch_execz .LBB6_1784
; %bb.1783:                             ;   in Loop: Header=BB6_945 Depth=1
	flat_load_b32 v10, v[12:13] offset:4 glc
	s_waitcnt vmcnt(0) lgkmcnt(0)
	v_ashrrev_i32_e32 v11, 31, v10
	s_delay_alu instid0(VALU_DEP_1)
	v_lshrrev_b64 v[10:11], 1, v[10:11]
.LBB6_1784:                             ;   in Loop: Header=BB6_945 Depth=1
	s_or_b32 exec_lo, exec_lo, s21
	s_delay_alu instid0(SALU_CYCLE_1)
	s_or_not1_b32 s7, vcc_lo, exec_lo
.LBB6_1785:                             ;   in Loop: Header=BB6_945 Depth=1
	s_or_b32 exec_lo, exec_lo, s12
	s_and_saveexec_b32 s12, s7
; %bb.1786:                             ;   in Loop: Header=BB6_945 Depth=1
	v_mad_i64_i32 v[10:11], null, v15, v112, 0
; %bb.1787:                             ;   in Loop: Header=BB6_945 Depth=1
	s_or_b32 exec_lo, exec_lo, s12
	s_delay_alu instid0(VALU_DEP_1) | instskip(SKIP_2) | instid1(VALU_DEP_2)
	v_lshlrev_b64 v[10:11], 1, v[10:11]
	v_and_b32_e32 v12, 0x2000, v102
	s_mov_b32 s7, exec_lo
	v_add_co_u32 v10, vcc_lo, v64, v10
	s_delay_alu instid0(VALU_DEP_3)
	v_add_co_ci_u32_e32 v11, vcc_lo, v65, v11, vcc_lo
	ds_store_b64 v0, v[10:11] offset:728
	v_cmpx_ne_u32_e32 0, v12
	s_cbranch_execz .LBB6_1789
; %bb.1788:                             ;   in Loop: Header=BB6_945 Depth=1
	ds_load_b64 v[10:11], v0 offset:584
	s_waitcnt lgkmcnt(0)
	v_add_co_u32 v10, vcc_lo, v10, 1
	v_add_co_ci_u32_e32 v11, vcc_lo, 0, v11, vcc_lo
	ds_store_b64 v0, v[10:11] offset:584
.LBB6_1789:                             ;   in Loop: Header=BB6_945 Depth=1
	s_or_b32 exec_lo, exec_lo, s7
	v_add_co_u32 v8, vcc_lo, v8, 1
	v_add_co_ci_u32_e32 v9, vcc_lo, 0, v9, vcc_lo
.LBB6_1790:                             ;   in Loop: Header=BB6_945 Depth=1
	s_or_b32 exec_lo, exec_lo, s11
	s_and_saveexec_b32 s7, s2
	s_cbranch_execz .LBB6_1812
; %bb.1791:                             ;   in Loop: Header=BB6_945 Depth=1
	s_and_saveexec_b32 s11, s3
	s_delay_alu instid0(SALU_CYCLE_1)
	s_xor_b32 s11, exec_lo, s11
	s_cbranch_execz .LBB6_1809
; %bb.1792:                             ;   in Loop: Header=BB6_945 Depth=1
	s_and_saveexec_b32 s12, s4
	s_cbranch_execz .LBB6_1808
; %bb.1793:                             ;   in Loop: Header=BB6_945 Depth=1
	s_mov_b32 s22, exec_lo
	s_mov_b32 s21, exec_lo
	v_mbcnt_lo_u32_b32 v10, s22, 0
	s_waitcnt lgkmcnt(0)
	s_waitcnt_vscnt null, 0x0
	buffer_gl1_inv
	buffer_gl0_inv
	v_cmpx_eq_u32_e32 0, v10
	s_cbranch_execz .LBB6_1795
; %bb.1794:                             ;   in Loop: Header=BB6_945 Depth=1
	s_bcnt1_i32_b32 s22, s22
	s_delay_alu instid0(SALU_CYCLE_1)
	v_mov_b32_e32 v29, s22
	ds_add_u64 v0, v[29:30]
	s_cbranch_execnz .LBB6_2190
.LBB6_1795:                             ;   in Loop: Header=BB6_945 Depth=1
	s_or_b32 exec_lo, exec_lo, s21
	s_cbranch_execnz .LBB6_2176
; %bb.1796:                             ;   in Loop: Header=BB6_945 Depth=1
	ds_load_b64 v[10:11], v0
	v_add_co_u32 v68, vcc_lo, v68, v87
	v_add_co_ci_u32_e32 v69, vcc_lo, 0, v69, vcc_lo
	s_mov_b32 s21, exec_lo
	s_waitcnt lgkmcnt(0)
	s_delay_alu instid0(VALU_DEP_1)
	v_cmpx_lt_u64_e64 v[10:11], v[68:69]
	s_cbranch_execz .LBB6_1807
; %bb.1797:                             ;   in Loop: Header=BB6_945 Depth=1
	s_mov_b32 s22, 0
	s_mov_b32 s25, 0
                                        ; implicit-def: $sgpr23
                                        ; implicit-def: $sgpr24
	s_branch .LBB6_1799
.LBB6_1798:                             ;   in Loop: Header=BB6_1799 Depth=2
	s_or_b32 exec_lo, exec_lo, s28
	s_delay_alu instid0(SALU_CYCLE_1) | instskip(NEXT) | instid1(SALU_CYCLE_1)
	s_and_b32 s26, exec_lo, s27
	s_or_b32 s22, s26, s22
	s_and_not1_b32 s23, s23, exec_lo
	s_and_b32 s26, s24, exec_lo
	s_delay_alu instid0(SALU_CYCLE_1)
	s_or_b32 s23, s23, s26
	s_and_not1_b32 exec_lo, exec_lo, s22
	s_cbranch_execz .LBB6_1805
.LBB6_1799:                             ;   Parent Loop BB6_945 Depth=1
                                        ; =>  This Inner Loop Header: Depth=2
	s_add_i32 s25, s25, 1
                                        ; implicit-def: $sgpr27
	s_delay_alu instid0(SALU_CYCLE_1) | instskip(SKIP_1) | instid1(SALU_CYCLE_1)
	s_cmpk_lg_i32 s25, 0x2710
	s_cselect_b32 s26, -1, 0
	s_and_b32 vcc_lo, exec_lo, s26
	s_cbranch_vccz .LBB6_1803
.LBB6_1800:                             ;   in Loop: Header=BB6_1799 Depth=2
	s_and_not1_b32 s24, s24, exec_lo
	s_and_b32 s28, s27, exec_lo
	s_mov_b32 s27, -1
	s_or_b32 s24, s24, s28
	s_and_saveexec_b32 s28, s26
	s_cbranch_execz .LBB6_1798
; %bb.1801:                             ;   in Loop: Header=BB6_1799 Depth=2
	s_sleep 1
	s_cbranch_execnz .LBB6_2226
; %bb.1802:                             ;   in Loop: Header=BB6_1799 Depth=2
	ds_load_b64 v[10:11], v0
	s_and_not1_b32 s24, s24, exec_lo
	s_waitcnt lgkmcnt(0)
	v_cmp_ge_u64_e32 vcc_lo, v[10:11], v[68:69]
	s_or_not1_b32 s27, vcc_lo, exec_lo
	s_branch .LBB6_1798
.LBB6_1803:                             ;   in Loop: Header=BB6_1799 Depth=2
	s_cbranch_execnz .LBB6_2244
; %bb.1804:                             ;   in Loop: Header=BB6_1799 Depth=2
	ds_load_b64 v[10:11], v0
	s_and_not1_b32 s26, s26, exec_lo
	s_mov_b32 s25, 0
	s_mov_b32 s27, -1
	s_waitcnt lgkmcnt(0)
	flat_load_b32 v10, v[10:11] glc
	s_waitcnt vmcnt(0) lgkmcnt(0)
	buffer_gl1_inv
	buffer_gl0_inv
	v_cmp_eq_u32_e32 vcc_lo, 0, v10
	s_and_b32 s28, vcc_lo, exec_lo
	s_delay_alu instid0(SALU_CYCLE_1)
	s_or_b32 s26, s26, s28
	s_branch .LBB6_1800
.LBB6_1805:                             ;   in Loop: Header=BB6_945 Depth=1
	s_or_b32 exec_lo, exec_lo, s22
	s_and_saveexec_b32 s22, s23
	s_delay_alu instid0(SALU_CYCLE_1)
	s_xor_b32 s22, exec_lo, s22
	s_cbranch_execz .LBB6_1807
; %bb.1806:                             ;   in Loop: Header=BB6_945 Depth=1
	ds_store_b32 v0, v133
	s_cbranch_execnz .LBB6_2304
.LBB6_1807:                             ;   in Loop: Header=BB6_945 Depth=1
	s_or_b32 exec_lo, exec_lo, s21
	;;#ASMSTART
	s_wakeup
	;;#ASMEND
.LBB6_1808:                             ;   in Loop: Header=BB6_945 Depth=1
	s_or_b32 exec_lo, exec_lo, s12
.LBB6_1809:                             ;   in Loop: Header=BB6_945 Depth=1
	s_and_not1_saveexec_b32 s11, s11
	s_cbranch_execz .LBB6_1811
; %bb.1810:                             ;   in Loop: Header=BB6_945 Depth=1
	s_waitcnt lgkmcnt(0)
	s_waitcnt_vscnt null, 0x0
	buffer_gl1_inv
	buffer_gl0_inv
	s_barrier
.LBB6_1811:                             ;   in Loop: Header=BB6_945 Depth=1
	s_or_b32 exec_lo, exec_lo, s11
.LBB6_1812:                             ;   in Loop: Header=BB6_945 Depth=1
	s_delay_alu instid0(SALU_CYCLE_1)
	s_or_b32 exec_lo, exec_lo, s7
	s_cbranch_execnz .LBB6_2111
; %bb.1813:                             ;   in Loop: Header=BB6_945 Depth=1
	ds_load_b32 v10, v0
	v_sub_nc_u32_e32 v11, v84, v14
	s_delay_alu instid0(VALU_DEP_1) | instskip(NEXT) | instid1(VALU_DEP_1)
	v_min_i32_e32 v11, v134, v11
	v_cmp_lt_i32_e32 vcc_lo, 0, v11
	s_waitcnt lgkmcnt(0)
	v_readfirstlane_b32 s7, v10
	v_and_b32_e32 v10, 16, v102
	s_delay_alu instid0(VALU_DEP_2) | instskip(NEXT) | instid1(VALU_DEP_1)
	s_cmp_eq_u32 s7, 0
	v_cmp_ne_u32_e64 s7, 0, v10
	s_cselect_b32 s11, -1, 0
	s_delay_alu instid0(SALU_CYCLE_1)
	s_and_b32 s11, vcc_lo, s11
	s_delay_alu instid0(VALU_DEP_1) | instid1(SALU_CYCLE_1)
	s_and_b32 s11, s7, s11
	s_delay_alu instid0(SALU_CYCLE_1)
	s_and_saveexec_b32 s7, s11
	s_cbranch_execz .LBB6_1815
; %bb.1814:                             ;   in Loop: Header=BB6_945 Depth=1
	s_waitcnt_vscnt null, 0x0
	buffer_gl1_inv
	buffer_gl0_inv
.LBB6_1815:                             ;   in Loop: Header=BB6_945 Depth=1
	s_or_b32 exec_lo, exec_lo, s7
	v_and_b32_e32 v10, 32, v102
	s_mov_b32 s7, exec_lo
	s_delay_alu instid0(VALU_DEP_1)
	v_cmpx_ne_u32_e32 0, v10
	s_cbranch_execz .LBB6_1817
; %bb.1816:                             ;   in Loop: Header=BB6_945 Depth=1
	v_add_co_u32 v8, vcc_lo, v8, 1
	v_add_co_ci_u32_e32 v9, vcc_lo, 0, v9, vcc_lo
	s_waitcnt_vscnt null, 0x0
	flat_store_b64 v[54:55], v[8:9]
.LBB6_1817:                             ;   in Loop: Header=BB6_945 Depth=1
	s_or_b32 exec_lo, exec_lo, s7
.LBB6_1818:                             ;   in Loop: Header=BB6_945 Depth=1
	s_delay_alu instid0(SALU_CYCLE_1) | instskip(SKIP_2) | instid1(VALU_DEP_1)
	s_or_b32 exec_lo, exec_lo, s10
	v_add_co_u32 v80, vcc_lo, v80, v70
	v_add_co_ci_u32_e32 v81, vcc_lo, 0, v81, vcc_lo
	v_cmp_ge_u64_e32 vcc_lo, v[80:81], v[4:5]
	s_or_b32 s18, vcc_lo, s18
	s_delay_alu instid0(SALU_CYCLE_1)
	s_and_not1_b32 exec_lo, exec_lo, s18
	s_cbranch_execnz .LBB6_945
; %bb.1819:
	s_or_b32 exec_lo, exec_lo, s18
.LBB6_1820:
	s_delay_alu instid0(SALU_CYCLE_1)
	s_or_b32 exec_lo, exec_lo, s14
.LBB6_1821:
	s_delay_alu instid0(SALU_CYCLE_1)
	s_or_b32 exec_lo, exec_lo, s13
                                        ; implicit-def: $vgpr82_vgpr83
                                        ; implicit-def: $vgpr4_vgpr5
                                        ; implicit-def: $vgpr80_vgpr81
                                        ; implicit-def: $vgpr112
                                        ; implicit-def: $vgpr66_vgpr67
                                        ; implicit-def: $vgpr64_vgpr65
                                        ; implicit-def: $vgpr54_vgpr55
                                        ; implicit-def: $vgpr0
                                        ; implicit-def: $vgpr22
                                        ; implicit-def: $vgpr70_vgpr71
.LBB6_1822:
	s_and_not1_saveexec_b32 s12, s17
	s_cbranch_execz .LBB6_2023
; %bb.1823:
	v_mov_b32_e32 v68, 0
	v_mov_b32_e32 v69, 0
	s_mov_b32 s13, exec_lo
	v_cmpx_ne_u64_e32 0, v[4:5]
	s_cbranch_execz .LBB6_2022
; %bb.1824:
	v_cmp_ge_i32_e64 s1, v0, v1
	s_cbranch_execnz .LBB6_2052
; %bb.1825:
	v_ashrrev_i32_e32 v10, 31, v0
	v_lshrrev_b32_e32 v25, 5, v1
	v_dual_mov_b32 v49, 1 :: v_dual_and_b32 v12, 31, v31
	s_lshr_b32 s4, s16, 27
	s_delay_alu instid0(VALU_DEP_3) | instskip(NEXT) | instid1(VALU_DEP_3)
	v_lshrrev_b32_e32 v10, 27, v10
	v_lshlrev_b32_e32 v27, 9, v25
	s_add_i32 s16, s16, s4
	v_cmp_eq_u32_e64 s4, 0, v12
	v_lshl_add_u32 v12, v25, 10, 0xfffffc00
	v_dual_mov_b32 v11, 0 :: v_dual_add_nc_u32 v10, v0, v10
	v_add_nc_u32_e32 v15, 0xfffffe00, v27
	v_lshlrev_b32_e32 v34, 6, v25
	v_cmp_eq_u32_e32 vcc_lo, 32, v1
	s_delay_alu instid0(VALU_DEP_4) | instskip(SKIP_3) | instid1(VALU_DEP_4)
	v_and_b32_e32 v13, 0xffffffe0, v10
	v_ashrrev_i32_e32 v26, 5, v10
	v_lshl_add_u32 v10, v25, 12, 0xfffff000
	v_add_co_u32 v35, s7, 0x200, v15
	v_sub_nc_u32_e32 v28, v0, v13
	s_delay_alu instid0(VALU_DEP_4) | instskip(NEXT) | instid1(VALU_DEP_4)
	v_lshlrev_b32_e32 v13, 12, v26
	v_ashrrev_i32_e32 v14, 31, v10
	v_add_co_u32 v30, s5, 0x1000, v10
	v_ashrrev_i32_e32 v10, 31, v15
	s_delay_alu instid0(VALU_DEP_4) | instskip(NEXT) | instid1(VALU_DEP_4)
	v_lshl_add_u32 v29, v28, 4, v13
	v_add_co_ci_u32_e64 v32, s5, 0, v14, s5
	v_ashrrev_i32_e32 v24, 31, v112
	s_delay_alu instid0(VALU_DEP_4)
	v_add_co_ci_u32_e64 v36, s7, 0, v10, s7
	v_ashrrev_i32_e32 v10, 31, v12
	v_add_co_u32 v37, s7, 0x400, v12
	v_mov_b32_e32 v12, 0
	v_mov_b32_e32 v13, 0
	v_subrev_nc_u32_e32 v14, 64, v34
	v_add_co_ci_u32_e64 v38, s7, 0, v10, s7
	v_cmp_ne_u32_e64 s2, 32, v1
	s_delay_alu instid0(VALU_DEP_4) | instskip(NEXT) | instid1(VALU_DEP_4)
	v_mov_b32_e32 v69, v13
	v_ashrrev_i32_e32 v10, 31, v14
	v_add_co_u32 v39, s7, v14, 64
	v_lshlrev_b64 v[14:15], 1, v[82:83]
	v_cmp_ne_u32_e64 s3, v103, v1
	s_delay_alu instid0(VALU_DEP_4)
	v_add_co_ci_u32_e64 v48, s7, 0, v10, s7
	s_waitcnt lgkmcnt(2)
	v_cmp_ne_u64_e64 s7, 0, v[80:81]
	v_cmp_gt_i32_e64 s5, 1, v28
	v_cmp_lt_i32_e64 s6, v28, v22
	v_ashrrev_i32_e32 v33, 31, v29
	v_mov_b32_e32 v68, v12
	s_ashr_i32 s16, s16, 5
	s_mov_b32 s14, 0
	s_xor_b32 s17, vcc_lo, -1
.LBB6_1826:                             ; =>This Loop Header: Depth=1
                                        ;     Child Loop BB6_1836 Depth 2
                                        ;     Child Loop BB6_1863 Depth 2
	;; [unrolled: 1-line block ×10, first 2 shown]
	v_sub_co_u32 v16, vcc_lo, v4, v12
	v_sub_co_ci_u32_e32 v17, vcc_lo, v5, v13, vcc_lo
	s_delay_alu instid0(VALU_DEP_1) | instskip(SKIP_2) | instid1(VALU_DEP_2)
	v_cmp_lt_u64_e32 vcc_lo, v[70:71], v[16:17]
	v_cndmask_b32_e32 v16, v16, v70, vcc_lo
	v_cndmask_b32_e64 v17, v17, 0, vcc_lo
	v_add_nc_u32_e32 v10, 15, v16
	s_delay_alu instid0(VALU_DEP_2) | instskip(NEXT) | instid1(VALU_DEP_2)
	v_cmp_eq_u64_e32 vcc_lo, 0, v[16:17]
	v_and_b32_e32 v10, 0x3ffffff0, v10
	s_or_b32 s18, s1, vcc_lo
	s_delay_alu instid0(SALU_CYCLE_1) | instskip(NEXT) | instid1(VALU_DEP_1)
	s_xor_b32 s10, s18, -1
	v_max_i32_e32 v21, s16, v10
	v_mov_b32_e32 v10, 0
	s_and_saveexec_b32 s19, s10
	s_cbranch_execz .LBB6_1963
; %bb.1827:                             ;   in Loop: Header=BB6_1826 Depth=1
	s_and_saveexec_b32 s10, s0
	s_cbranch_execz .LBB6_1830
; %bb.1828:                             ;   in Loop: Header=BB6_1826 Depth=1
	s_cbranch_execnz .LBB6_2093
; %bb.1829:                             ;   in Loop: Header=BB6_1826 Depth=1
	ds_load_b64 v[17:18], v0
	s_waitcnt lgkmcnt(1)
	v_lshlrev_b64 v[19:20], 1, v[12:13]
	s_waitcnt lgkmcnt(0)
	v_add_co_u32 v10, vcc_lo, v17, v14
	v_add_co_ci_u32_e32 v18, vcc_lo, v18, v15, vcc_lo
	s_delay_alu instid0(VALU_DEP_2) | instskip(NEXT) | instid1(VALU_DEP_2)
	v_add_co_u32 v17, vcc_lo, v10, v19
	v_add_co_ci_u32_e32 v18, vcc_lo, v18, v20, vcc_lo
	v_mov_b32_e32 v10, v11
	ds_store_b64 v0, v[17:18]
	ds_store_b64 v0, v[10:11]
.LBB6_1830:                             ;   in Loop: Header=BB6_1826 Depth=1
	s_or_b32 exec_lo, exec_lo, s10
	v_and_b32_e32 v10, 8, v102
	s_mov_b32 s11, -1
	s_mov_b32 s10, exec_lo
	s_delay_alu instid0(VALU_DEP_1)
	v_cmpx_ne_u32_e32 0, v10
	s_cbranch_execz .LBB6_1844
; %bb.1831:                             ;   in Loop: Header=BB6_1826 Depth=1
	v_add_co_u32 v19, vcc_lo, v66, 8
	s_waitcnt lgkmcnt(0)
	v_add_co_ci_u32_e32 v20, vcc_lo, 0, v67, vcc_lo
	v_add_co_u32 v17, vcc_lo, v8, 1
	v_add_co_ci_u32_e32 v18, vcc_lo, 0, v9, vcc_lo
	v_mov_b32_e32 v10, 1
	s_mov_b32 s11, exec_lo
	s_delay_alu instid0(VALU_DEP_2)
	v_cmpx_lt_u64_e64 v[19:20], v[17:18]
	s_cbranch_execz .LBB6_1843
; %bb.1832:                             ;   in Loop: Header=BB6_1826 Depth=1
	v_mov_b32_e32 v10, 0
	s_mov_b32 s20, 0
                                        ; implicit-def: $sgpr21
	s_branch .LBB6_1836
.LBB6_1833:                             ;   in Loop: Header=BB6_1836 Depth=2
	s_or_b32 exec_lo, exec_lo, s25
	v_mov_b32_e32 v19, 0
	s_or_not1_b32 s24, s24, exec_lo
.LBB6_1834:                             ;   in Loop: Header=BB6_1836 Depth=2
	s_or_b32 exec_lo, exec_lo, s23
	s_delay_alu instid0(VALU_DEP_1) | instskip(SKIP_2) | instid1(SALU_CYCLE_1)
	v_mov_b32_e32 v10, v19
	s_and_not1_b32 s21, s21, exec_lo
	s_and_b32 s23, s24, exec_lo
	s_or_b32 s21, s21, s23
.LBB6_1835:                             ;   in Loop: Header=BB6_1836 Depth=2
	s_or_b32 exec_lo, exec_lo, s22
	s_waitcnt vmcnt(0) lgkmcnt(0)
	v_add_co_u32 v19, vcc_lo, v66, 8
	v_add_co_ci_u32_e32 v20, vcc_lo, 0, v67, vcc_lo
	s_xor_b32 s22, s21, -1
	s_delay_alu instid0(VALU_DEP_1) | instskip(SKIP_1) | instid1(SALU_CYCLE_1)
	v_cmp_ge_u64_e32 vcc_lo, v[19:20], v[17:18]
	s_or_b32 s22, s22, vcc_lo
	s_and_b32 s22, exec_lo, s22
	s_delay_alu instid0(SALU_CYCLE_1) | instskip(NEXT) | instid1(SALU_CYCLE_1)
	s_or_b32 s20, s22, s20
	s_and_not1_b32 exec_lo, exec_lo, s20
	s_cbranch_execz .LBB6_1842
.LBB6_1836:                             ;   Parent Loop BB6_1826 Depth=1
                                        ; =>  This Inner Loop Header: Depth=2
	s_sleep 1
	flat_load_b64 v[66:67], v[54:55] glc
	v_and_b32_e32 v19, 64, v102
	s_and_not1_b32 s21, s21, exec_lo
	s_mov_b32 s22, exec_lo
	s_delay_alu instid0(VALU_DEP_1)
	v_cmpx_eq_u32_e32 0, v19
	s_cbranch_execz .LBB6_1835
; %bb.1837:                             ;   in Loop: Header=BB6_1836 Depth=2
	v_add_nc_u32_e32 v19, 1, v10
	s_mov_b32 s24, -1
	s_mov_b32 s23, exec_lo
	v_cmpx_lt_i32_e32 0x270e, v10
	s_cbranch_execz .LBB6_1834
; %bb.1838:                             ;   in Loop: Header=BB6_1836 Depth=2
	s_cbranch_execnz .LBB6_2099
; %bb.1839:                             ;   in Loop: Header=BB6_1836 Depth=2
	ds_load_b64 v[19:20], v0
	s_mov_b32 s25, exec_lo
	s_waitcnt vmcnt(0) lgkmcnt(0)
	s_waitcnt_vscnt null, 0x0
	flat_load_b32 v10, v[19:20] glc
	s_waitcnt vmcnt(0) lgkmcnt(0)
	buffer_gl1_inv
	buffer_gl0_inv
	v_cmpx_ne_u32_e32 0, v10
	s_cbranch_execz .LBB6_1833
; %bb.1840:                             ;   in Loop: Header=BB6_1836 Depth=2
	ds_store_b32 v0, v10
	s_cbranch_execnz .LBB6_2142
; %bb.1841:                             ;   in Loop: Header=BB6_1836 Depth=2
	v_or_b32_e32 v102, 64, v102
	s_xor_b32 s24, exec_lo, -1
	s_branch .LBB6_1833
.LBB6_1842:                             ;   in Loop: Header=BB6_1826 Depth=1
	s_or_b32 exec_lo, exec_lo, s20
	v_and_b32_e32 v10, 8, v102
.LBB6_1843:                             ;   in Loop: Header=BB6_1826 Depth=1
	s_or_b32 exec_lo, exec_lo, s11
	s_delay_alu instid0(VALU_DEP_1)
	v_cmp_eq_u32_e32 vcc_lo, 0, v10
	;;#ASMSTART
	s_wakeup
	;;#ASMEND
	s_or_not1_b32 s11, vcc_lo, exec_lo
.LBB6_1844:                             ;   in Loop: Header=BB6_1826 Depth=1
	s_or_b32 exec_lo, exec_lo, s10
	v_min_u32_e32 v21, v21, v16
	s_xor_b32 s10, s11, -1
	s_delay_alu instid0(SALU_CYCLE_1)
	s_and_saveexec_b32 s11, s10
	s_cbranch_execz .LBB6_1854
; %bb.1845:                             ;   in Loop: Header=BB6_1826 Depth=1
	v_and_b32_e32 v10, 0x100, v102
	s_waitcnt lgkmcnt(0)
	v_and_b32_e32 v22, 7, v8
	s_mov_b32 s10, -1
	s_mov_b32 s20, exec_lo
                                        ; implicit-def: $vgpr17_vgpr18
	v_cmpx_ne_u32_e32 0, v10
	s_cbranch_execz .LBB6_1849
; %bb.1846:                             ;   in Loop: Header=BB6_1826 Depth=1
	v_mad_u64_u32 v[19:20], null, v22, 24, v[6:7]
	v_lshlrev_b32_e32 v10, 1, v21
	flat_load_b32 v17, v[19:20]
	flat_store_b64 v[19:20], v[10:11] offset:8
	s_waitcnt vmcnt(0) lgkmcnt(1)
	v_cmp_ne_u32_e32 vcc_lo, 1, v17
	v_cmp_eq_u32_e64 s10, 1, v17
                                        ; implicit-def: $vgpr17_vgpr18
	s_delay_alu instid0(VALU_DEP_1)
	s_and_saveexec_b32 s21, s10
	s_cbranch_execz .LBB6_1848
; %bb.1847:                             ;   in Loop: Header=BB6_1826 Depth=1
	flat_load_b32 v17, v[19:20] offset:4 glc
	s_waitcnt vmcnt(0) lgkmcnt(0)
	v_ashrrev_i32_e32 v18, 31, v17
	s_delay_alu instid0(VALU_DEP_1)
	v_lshrrev_b64 v[17:18], 1, v[17:18]
.LBB6_1848:                             ;   in Loop: Header=BB6_1826 Depth=1
	s_or_b32 exec_lo, exec_lo, s21
	s_delay_alu instid0(SALU_CYCLE_1)
	s_or_not1_b32 s10, vcc_lo, exec_lo
.LBB6_1849:                             ;   in Loop: Header=BB6_1826 Depth=1
	s_or_b32 exec_lo, exec_lo, s20
	s_and_saveexec_b32 s20, s10
; %bb.1850:                             ;   in Loop: Header=BB6_1826 Depth=1
	v_mad_i64_i32 v[17:18], null, v22, v112, 0
; %bb.1851:                             ;   in Loop: Header=BB6_1826 Depth=1
	s_or_b32 exec_lo, exec_lo, s20
	s_delay_alu instid0(VALU_DEP_1) | instskip(SKIP_2) | instid1(VALU_DEP_2)
	v_lshlrev_b64 v[17:18], 1, v[17:18]
	v_and_b32_e32 v10, 0x2000, v102
	s_mov_b32 s10, exec_lo
	v_add_co_u32 v17, vcc_lo, v64, v17
	s_delay_alu instid0(VALU_DEP_3)
	v_add_co_ci_u32_e32 v18, vcc_lo, v65, v18, vcc_lo
	ds_store_b64 v0, v[17:18] offset:784
	v_cmpx_ne_u32_e32 0, v10
	s_cbranch_execz .LBB6_1853
; %bb.1852:                             ;   in Loop: Header=BB6_1826 Depth=1
	ds_load_b64 v[17:18], v0 offset:584
	s_waitcnt lgkmcnt(0)
	v_add_co_u32 v17, vcc_lo, v17, 1
	v_add_co_ci_u32_e32 v18, vcc_lo, 0, v18, vcc_lo
	ds_store_b64 v0, v[17:18] offset:584
.LBB6_1853:                             ;   in Loop: Header=BB6_1826 Depth=1
	s_or_b32 exec_lo, exec_lo, s10
	v_add_co_u32 v8, vcc_lo, v8, 1
	v_add_co_ci_u32_e32 v9, vcc_lo, 0, v9, vcc_lo
.LBB6_1854:                             ;   in Loop: Header=BB6_1826 Depth=1
	s_or_b32 exec_lo, exec_lo, s11
	s_and_saveexec_b32 s10, s2
	s_cbranch_execz .LBB6_1876
; %bb.1855:                             ;   in Loop: Header=BB6_1826 Depth=1
	s_and_saveexec_b32 s11, s3
	s_delay_alu instid0(SALU_CYCLE_1)
	s_xor_b32 s11, exec_lo, s11
	s_cbranch_execz .LBB6_1873
; %bb.1856:                             ;   in Loop: Header=BB6_1826 Depth=1
	s_and_saveexec_b32 s20, s4
	s_cbranch_execz .LBB6_1872
; %bb.1857:                             ;   in Loop: Header=BB6_1826 Depth=1
	s_mov_b32 s22, exec_lo
	s_mov_b32 s21, exec_lo
	v_mbcnt_lo_u32_b32 v10, s22, 0
	s_waitcnt lgkmcnt(0)
	s_waitcnt_vscnt null, 0x0
	buffer_gl1_inv
	buffer_gl0_inv
	v_cmpx_eq_u32_e32 0, v10
	s_cbranch_execz .LBB6_1859
; %bb.1858:                             ;   in Loop: Header=BB6_1826 Depth=1
	s_bcnt1_i32_b32 s22, s22
	s_delay_alu instid0(SALU_CYCLE_1)
	v_mov_b32_e32 v10, s22
	ds_add_u64 v0, v[10:11]
	s_cbranch_execnz .LBB6_2154
.LBB6_1859:                             ;   in Loop: Header=BB6_1826 Depth=1
	s_or_b32 exec_lo, exec_lo, s21
	s_cbranch_execnz .LBB6_2144
; %bb.1860:                             ;   in Loop: Header=BB6_1826 Depth=1
	ds_load_b64 v[17:18], v0
	v_add_co_u32 v68, vcc_lo, v68, v25
	v_add_co_ci_u32_e32 v69, vcc_lo, 0, v69, vcc_lo
	s_mov_b32 s21, exec_lo
	s_waitcnt lgkmcnt(0)
	s_delay_alu instid0(VALU_DEP_1)
	v_cmpx_lt_u64_e64 v[17:18], v[68:69]
	s_cbranch_execz .LBB6_1871
; %bb.1861:                             ;   in Loop: Header=BB6_1826 Depth=1
	s_mov_b32 s22, 0
	s_mov_b32 s25, 0
                                        ; implicit-def: $sgpr23
                                        ; implicit-def: $sgpr24
	s_branch .LBB6_1863
.LBB6_1862:                             ;   in Loop: Header=BB6_1863 Depth=2
	s_or_b32 exec_lo, exec_lo, s28
	s_delay_alu instid0(SALU_CYCLE_1) | instskip(NEXT) | instid1(SALU_CYCLE_1)
	s_and_b32 s26, exec_lo, s27
	s_or_b32 s22, s26, s22
	s_and_not1_b32 s23, s23, exec_lo
	s_and_b32 s26, s24, exec_lo
	s_delay_alu instid0(SALU_CYCLE_1)
	s_or_b32 s23, s23, s26
	s_and_not1_b32 exec_lo, exec_lo, s22
	s_cbranch_execz .LBB6_1869
.LBB6_1863:                             ;   Parent Loop BB6_1826 Depth=1
                                        ; =>  This Inner Loop Header: Depth=2
	s_add_i32 s25, s25, 1
                                        ; implicit-def: $sgpr27
	s_delay_alu instid0(SALU_CYCLE_1) | instskip(SKIP_1) | instid1(SALU_CYCLE_1)
	s_cmpk_lg_i32 s25, 0x2710
	s_cselect_b32 s26, -1, 0
	s_and_b32 vcc_lo, exec_lo, s26
	s_cbranch_vccz .LBB6_1867
.LBB6_1864:                             ;   in Loop: Header=BB6_1863 Depth=2
	s_and_not1_b32 s24, s24, exec_lo
	s_and_b32 s28, s27, exec_lo
	s_mov_b32 s27, -1
	s_or_b32 s24, s24, s28
	s_and_saveexec_b32 s28, s26
	s_cbranch_execz .LBB6_1862
; %bb.1865:                             ;   in Loop: Header=BB6_1863 Depth=2
	s_sleep 1
	s_cbranch_execnz .LBB6_2186
; %bb.1866:                             ;   in Loop: Header=BB6_1863 Depth=2
	ds_load_b64 v[17:18], v0
	s_and_not1_b32 s24, s24, exec_lo
	s_waitcnt lgkmcnt(0)
	v_cmp_ge_u64_e32 vcc_lo, v[17:18], v[68:69]
	s_or_not1_b32 s27, vcc_lo, exec_lo
	s_branch .LBB6_1862
.LBB6_1867:                             ;   in Loop: Header=BB6_1863 Depth=2
	s_cbranch_execnz .LBB6_2196
; %bb.1868:                             ;   in Loop: Header=BB6_1863 Depth=2
	ds_load_b64 v[17:18], v0
	s_and_not1_b32 s26, s26, exec_lo
	s_mov_b32 s25, 0
	s_mov_b32 s27, -1
	s_waitcnt lgkmcnt(0)
	flat_load_b32 v10, v[17:18] glc
	s_waitcnt vmcnt(0) lgkmcnt(0)
	buffer_gl1_inv
	buffer_gl0_inv
	v_cmp_eq_u32_e32 vcc_lo, 0, v10
	s_and_b32 s28, vcc_lo, exec_lo
	s_delay_alu instid0(SALU_CYCLE_1)
	s_or_b32 s26, s26, s28
	s_branch .LBB6_1864
.LBB6_1869:                             ;   in Loop: Header=BB6_1826 Depth=1
	s_or_b32 exec_lo, exec_lo, s22
	s_and_saveexec_b32 s22, s23
	s_delay_alu instid0(SALU_CYCLE_1)
	s_xor_b32 s22, exec_lo, s22
	s_cbranch_execz .LBB6_1871
; %bb.1870:                             ;   in Loop: Header=BB6_1826 Depth=1
	ds_store_b32 v0, v49
	s_cbranch_execnz .LBB6_2294
.LBB6_1871:                             ;   in Loop: Header=BB6_1826 Depth=1
	s_or_b32 exec_lo, exec_lo, s21
	;;#ASMSTART
	s_wakeup
	;;#ASMEND
.LBB6_1872:                             ;   in Loop: Header=BB6_1826 Depth=1
	s_or_b32 exec_lo, exec_lo, s20
.LBB6_1873:                             ;   in Loop: Header=BB6_1826 Depth=1
	s_and_not1_saveexec_b32 s11, s11
	s_cbranch_execz .LBB6_1875
; %bb.1874:                             ;   in Loop: Header=BB6_1826 Depth=1
	s_waitcnt lgkmcnt(0)
	s_waitcnt_vscnt null, 0x0
	buffer_gl1_inv
	buffer_gl0_inv
	s_barrier
.LBB6_1875:                             ;   in Loop: Header=BB6_1826 Depth=1
	s_or_b32 exec_lo, exec_lo, s11
.LBB6_1876:                             ;   in Loop: Header=BB6_1826 Depth=1
	s_delay_alu instid0(SALU_CYCLE_1)
	s_or_b32 exec_lo, exec_lo, s10
	s_cbranch_execnz .LBB6_2091
; %bb.1877:                             ;   in Loop: Header=BB6_1826 Depth=1
	ds_load_b32 v17, v0
	v_and_b32_e32 v10, 0x4000, v102
	s_delay_alu instid0(VALU_DEP_1) | instskip(SKIP_1) | instid1(SALU_CYCLE_1)
	v_cmp_ne_u32_e32 vcc_lo, 0, v10
	s_and_b32 s11, s17, vcc_lo
	s_and_saveexec_b32 s10, s11
	s_cbranch_execz .LBB6_1899
; %bb.1878:                             ;   in Loop: Header=BB6_1826 Depth=1
	s_and_saveexec_b32 s11, s3
	s_delay_alu instid0(SALU_CYCLE_1)
	s_xor_b32 s11, exec_lo, s11
	s_cbranch_execz .LBB6_1896
; %bb.1879:                             ;   in Loop: Header=BB6_1826 Depth=1
	s_and_saveexec_b32 s20, s4
	s_cbranch_execz .LBB6_1895
; %bb.1880:                             ;   in Loop: Header=BB6_1826 Depth=1
	s_mov_b32 s22, exec_lo
	s_mov_b32 s21, exec_lo
	v_mbcnt_lo_u32_b32 v10, s22, 0
	s_waitcnt lgkmcnt(0)
	s_waitcnt_vscnt null, 0x0
	buffer_gl1_inv
	buffer_gl0_inv
	v_cmpx_eq_u32_e32 0, v10
	s_cbranch_execz .LBB6_1882
; %bb.1881:                             ;   in Loop: Header=BB6_1826 Depth=1
	s_bcnt1_i32_b32 s22, s22
	s_delay_alu instid0(SALU_CYCLE_1)
	v_mov_b32_e32 v10, s22
	ds_add_u64 v0, v[10:11]
	s_cbranch_execnz .LBB6_2184
.LBB6_1882:                             ;   in Loop: Header=BB6_1826 Depth=1
	s_or_b32 exec_lo, exec_lo, s21
	s_cbranch_execnz .LBB6_2172
; %bb.1883:                             ;   in Loop: Header=BB6_1826 Depth=1
	ds_load_b64 v[18:19], v0
	v_add_co_u32 v68, vcc_lo, v68, v25
	v_add_co_ci_u32_e32 v69, vcc_lo, 0, v69, vcc_lo
	s_mov_b32 s21, exec_lo
	s_waitcnt lgkmcnt(0)
	s_delay_alu instid0(VALU_DEP_1)
	v_cmpx_lt_u64_e64 v[18:19], v[68:69]
	s_cbranch_execz .LBB6_1894
; %bb.1884:                             ;   in Loop: Header=BB6_1826 Depth=1
	s_mov_b32 s22, 0
	s_mov_b32 s25, 0
                                        ; implicit-def: $sgpr23
                                        ; implicit-def: $sgpr24
	s_branch .LBB6_1886
.LBB6_1885:                             ;   in Loop: Header=BB6_1886 Depth=2
	s_or_b32 exec_lo, exec_lo, s28
	s_delay_alu instid0(SALU_CYCLE_1) | instskip(NEXT) | instid1(SALU_CYCLE_1)
	s_and_b32 s26, exec_lo, s27
	s_or_b32 s22, s26, s22
	s_and_not1_b32 s23, s23, exec_lo
	s_and_b32 s26, s24, exec_lo
	s_delay_alu instid0(SALU_CYCLE_1)
	s_or_b32 s23, s23, s26
	s_and_not1_b32 exec_lo, exec_lo, s22
	s_cbranch_execz .LBB6_1892
.LBB6_1886:                             ;   Parent Loop BB6_1826 Depth=1
                                        ; =>  This Inner Loop Header: Depth=2
	s_add_i32 s25, s25, 1
                                        ; implicit-def: $sgpr27
	s_delay_alu instid0(SALU_CYCLE_1) | instskip(SKIP_1) | instid1(SALU_CYCLE_1)
	s_cmpk_lg_i32 s25, 0x2710
	s_cselect_b32 s26, -1, 0
	s_and_b32 vcc_lo, exec_lo, s26
	s_cbranch_vccz .LBB6_1890
.LBB6_1887:                             ;   in Loop: Header=BB6_1886 Depth=2
	s_and_not1_b32 s24, s24, exec_lo
	s_and_b32 s28, s27, exec_lo
	s_mov_b32 s27, -1
	s_or_b32 s24, s24, s28
	s_and_saveexec_b32 s28, s26
	s_cbranch_execz .LBB6_1885
; %bb.1888:                             ;   in Loop: Header=BB6_1886 Depth=2
	s_sleep 1
	s_cbranch_execnz .LBB6_2216
; %bb.1889:                             ;   in Loop: Header=BB6_1886 Depth=2
	ds_load_b64 v[18:19], v0
	s_and_not1_b32 s24, s24, exec_lo
	s_waitcnt lgkmcnt(0)
	v_cmp_ge_u64_e32 vcc_lo, v[18:19], v[68:69]
	s_or_not1_b32 s27, vcc_lo, exec_lo
	s_branch .LBB6_1885
.LBB6_1890:                             ;   in Loop: Header=BB6_1886 Depth=2
	s_cbranch_execnz .LBB6_2224
; %bb.1891:                             ;   in Loop: Header=BB6_1886 Depth=2
	ds_load_b64 v[18:19], v0
	s_and_not1_b32 s26, s26, exec_lo
	s_mov_b32 s25, 0
	s_mov_b32 s27, -1
	s_waitcnt lgkmcnt(0)
	flat_load_b32 v10, v[18:19] glc
	s_waitcnt vmcnt(0) lgkmcnt(0)
	buffer_gl1_inv
	buffer_gl0_inv
	v_cmp_eq_u32_e32 vcc_lo, 0, v10
	s_and_b32 s28, vcc_lo, exec_lo
	s_delay_alu instid0(SALU_CYCLE_1)
	s_or_b32 s26, s26, s28
	s_branch .LBB6_1887
.LBB6_1892:                             ;   in Loop: Header=BB6_1826 Depth=1
	s_or_b32 exec_lo, exec_lo, s22
	s_and_saveexec_b32 s22, s23
	s_delay_alu instid0(SALU_CYCLE_1)
	s_xor_b32 s22, exec_lo, s22
	s_cbranch_execz .LBB6_1894
; %bb.1893:                             ;   in Loop: Header=BB6_1826 Depth=1
	ds_store_b32 v0, v49
	s_cbranch_execnz .LBB6_2302
.LBB6_1894:                             ;   in Loop: Header=BB6_1826 Depth=1
	s_or_b32 exec_lo, exec_lo, s21
	;;#ASMSTART
	s_wakeup
	;;#ASMEND
.LBB6_1895:                             ;   in Loop: Header=BB6_1826 Depth=1
	s_or_b32 exec_lo, exec_lo, s20
.LBB6_1896:                             ;   in Loop: Header=BB6_1826 Depth=1
	s_and_not1_saveexec_b32 s11, s11
	s_cbranch_execz .LBB6_1898
; %bb.1897:                             ;   in Loop: Header=BB6_1826 Depth=1
	s_waitcnt lgkmcnt(0)
	s_waitcnt_vscnt null, 0x0
	buffer_gl1_inv
	buffer_gl0_inv
	s_barrier
.LBB6_1898:                             ;   in Loop: Header=BB6_1826 Depth=1
	s_or_b32 exec_lo, exec_lo, s11
.LBB6_1899:                             ;   in Loop: Header=BB6_1826 Depth=1
	s_delay_alu instid0(SALU_CYCLE_1)
	s_or_b32 exec_lo, exec_lo, s10
	s_cbranch_execnz .LBB6_2105
; %bb.1900:                             ;   in Loop: Header=BB6_1826 Depth=1
	ds_load_b64 v[18:19], v0
	s_waitcnt lgkmcnt(0)
	v_cmp_eq_u64_e32 vcc_lo, 0, v[18:19]
	s_or_b32 s10, vcc_lo, vcc_lo
	s_delay_alu instid0(SALU_CYCLE_1)
	s_and_b32 vcc_lo, exec_lo, s10
	s_mov_b32 s10, 0
	s_cbranch_vccnz .LBB6_1934
; %bb.1901:                             ;   in Loop: Header=BB6_1826 Depth=1
	s_mov_b32 s10, -1
	s_and_saveexec_b32 s11, s5
	s_cbranch_execz .LBB6_1903
; %bb.1902:                             ;   in Loop: Header=BB6_1826 Depth=1
	ds_load_b32 v10, v0 offset:720
	s_waitcnt lgkmcnt(0)
	v_and_b32_e32 v10, 15, v10
	s_delay_alu instid0(VALU_DEP_1)
	v_cmp_eq_u32_e32 vcc_lo, 0, v10
	s_or_not1_b32 s10, vcc_lo, exec_lo
.LBB6_1903:                             ;   in Loop: Header=BB6_1826 Depth=1
	s_or_b32 exec_lo, exec_lo, s11
	s_and_saveexec_b32 s11, s6
	s_cbranch_execz .LBB6_1905
; %bb.1904:                             ;   in Loop: Header=BB6_1826 Depth=1
	ds_load_b32 v10, v0 offset:784
	s_waitcnt lgkmcnt(0)
	v_and_b32_e32 v10, 15, v10
	s_delay_alu instid0(VALU_DEP_1) | instskip(SKIP_3) | instid1(SALU_CYCLE_1)
	v_cmp_eq_u32_e32 vcc_lo, 0, v10
	s_and_b32 s20, s10, vcc_lo
	s_and_not1_b32 s10, s10, exec_lo
	s_and_b32 s20, s20, exec_lo
	s_or_b32 s10, s10, s20
.LBB6_1905:                             ;   in Loop: Header=BB6_1826 Depth=1
	s_or_b32 exec_lo, exec_lo, s11
	v_cmp_eq_u32_e32 vcc_lo, 0, v17
	s_xor_b32 s10, s10, -1
	v_mov_b32_e32 v23, 0
	v_cndmask_b32_e64 v18, 0, 1, s10
	;;#ASMSTART
	;;#ASMEND
	v_cndmask_b32_e32 v10, 0, v21, vcc_lo
	s_delay_alu instid0(VALU_DEP_2) | instskip(SKIP_1) | instid1(VALU_DEP_2)
	v_cmp_ne_u32_e32 vcc_lo, 0, v18
	s_mov_b32 s10, -1
	v_lshlrev_b32_e32 v22, 1, v10
	s_cbranch_vccz .LBB6_1907
; %bb.1906:                             ;   in Loop: Header=BB6_1826 Depth=1
	v_mov_b32_e32 v50, v0
	v_mov_b32_e32 v84, v26
	s_branch .LBB6_1922
.LBB6_1907:                             ;   in Loop: Header=BB6_1826 Depth=1
	v_lshrrev_b32_e32 v23, 11, v10
	s_mov_b32 s10, exec_lo
	s_delay_alu instid0(VALU_DEP_1) | instskip(NEXT) | instid1(VALU_DEP_1)
	v_sub_nc_u32_e32 v51, v23, v26
	v_cmpx_lt_i32_e32 0, v51
	s_cbranch_execz .LBB6_1912
; %bb.1908:                             ;   in Loop: Header=BB6_1826 Depth=1
	s_cbranch_execnz .LBB6_2200
; %bb.1909:                             ;   in Loop: Header=BB6_1826 Depth=1
	ds_load_b64 v[17:18], v0
	s_mov_b32 s11, 0
	s_waitcnt lgkmcnt(0)
	v_dual_mov_b32 v20, v18 :: v_dual_mov_b32 v19, v17
.LBB6_1910:                             ;   Parent Loop BB6_1826 Depth=1
                                        ; =>  This Inner Loop Header: Depth=2
	s_delay_alu instid0(VALU_DEP_1) | instskip(NEXT) | instid1(VALU_DEP_2)
	v_add_co_u32 v86, vcc_lo, v29, v19
	v_add_co_ci_u32_e32 v87, vcc_lo, v33, v20, vcc_lo
	v_sub_nc_u32_e32 v51, v51, v25
	s_clause 0x7
	global_load_b128 v[82:85], v[86:87], off slc dlc
	global_load_b128 v[96:99], v[86:87], off offset:512 slc dlc
	global_load_b128 v[113:116], v[86:87], off offset:1024 slc dlc
	;; [unrolled: 1-line block ×7, first 2 shown]
	v_add_co_u32 v86, vcc_lo, v29, v17
	v_add_co_ci_u32_e32 v87, vcc_lo, v33, v18, vcc_lo
	v_add_co_u32 v19, vcc_lo, v19, v30
	v_add_co_ci_u32_e32 v20, vcc_lo, v20, v32, vcc_lo
	;; [unrolled: 2-line block ×3, first 2 shown]
	v_cmp_gt_i32_e32 vcc_lo, 1, v51
	s_waitcnt vmcnt(7)
	global_store_b128 v[86:87], v[82:85], off glc slc dlc
	s_waitcnt vmcnt(6)
	global_store_b128 v[86:87], v[96:99], off offset:512 glc slc dlc
	s_waitcnt vmcnt(5)
	global_store_b128 v[86:87], v[113:116], off offset:1024 glc slc dlc
	;; [unrolled: 2-line block ×7, first 2 shown]
	s_or_b32 s11, vcc_lo, s11
	s_delay_alu instid0(SALU_CYCLE_1)
	s_and_not1_b32 exec_lo, exec_lo, s11
	s_cbranch_execnz .LBB6_1910
; %bb.1911:                             ;   in Loop: Header=BB6_1826 Depth=1
	s_or_b32 exec_lo, exec_lo, s11
.LBB6_1912:                             ;   in Loop: Header=BB6_1826 Depth=1
	s_delay_alu instid0(SALU_CYCLE_1) | instskip(SKIP_4) | instid1(VALU_DEP_2)
	s_or_b32 exec_lo, exec_lo, s10
	v_lshlrev_b32_e32 v19, 12, v23
	v_mov_b32_e32 v23, 0
	s_mov_b32 s10, 0
	s_mov_b32 s20, exec_lo
                                        ; implicit-def: $vgpr50
                                        ; implicit-def: $vgpr84
	v_cmpx_ne_u32_e64 v22, v19
	s_cbranch_execz .LBB6_1921
; %bb.1913:                             ;   in Loop: Header=BB6_1826 Depth=1
	v_lshlrev_b32_e32 v17, 5, v51
	v_sub_nc_u32_e32 v23, v22, v19
	s_mov_b32 s21, exec_lo
	s_delay_alu instid0(VALU_DEP_2) | instskip(NEXT) | instid1(VALU_DEP_2)
	v_sub_nc_u32_e32 v17, v28, v17
	v_ashrrev_i32_e32 v20, 31, v23
	s_delay_alu instid0(VALU_DEP_2) | instskip(NEXT) | instid1(VALU_DEP_2)
	v_ashrrev_i32_e32 v18, 31, v17
	v_lshrrev_b32_e32 v20, 23, v20
	s_delay_alu instid0(VALU_DEP_2) | instskip(NEXT) | instid1(VALU_DEP_2)
	v_lshrrev_b32_e32 v18, 27, v18
	v_add_nc_u32_e32 v83, v23, v20
	s_delay_alu instid0(VALU_DEP_2) | instskip(NEXT) | instid1(VALU_DEP_2)
	v_add_nc_u32_e32 v18, v17, v18
	v_and_b32_e32 v20, 0xfffffe00, v83
	v_ashrrev_i32_e32 v83, 9, v83
	s_delay_alu instid0(VALU_DEP_3) | instskip(NEXT) | instid1(VALU_DEP_3)
	v_and_b32_e32 v50, 0xffffffe0, v18
	v_sub_nc_u32_e32 v82, v23, v20
	s_delay_alu instid0(VALU_DEP_2) | instskip(SKIP_1) | instid1(VALU_DEP_3)
	v_sub_nc_u32_e32 v51, v17, v50
	v_ashrrev_i32_e32 v17, 5, v18
	v_cmp_lt_i32_e32 vcc_lo, 15, v82
	s_delay_alu instid0(VALU_DEP_3) | instskip(NEXT) | instid1(VALU_DEP_1)
	v_lshlrev_b32_e32 v18, 4, v51
	v_lshl_add_u32 v50, v17, 9, v18
	v_add_co_ci_u32_e64 v18, s10, 0, v83, vcc_lo
	s_delay_alu instid0(VALU_DEP_2) | instskip(NEXT) | instid1(VALU_DEP_2)
	v_sub_nc_u32_e32 v23, v23, v50
	v_sub_nc_u32_e32 v83, v18, v17
	s_delay_alu instid0(VALU_DEP_2)
	v_cmpx_lt_i32_e32 15, v23
	s_cbranch_execz .LBB6_1918
; %bb.1914:                             ;   in Loop: Header=BB6_1826 Depth=1
	s_cbranch_execnz .LBB6_2242
; %bb.1915:                             ;   in Loop: Header=BB6_1826 Depth=1
	ds_load_b64 v[17:18], v0
	v_add_nc_u32_e32 v50, v50, v19
	s_mov_b32 s22, 0
	s_delay_alu instid0(VALU_DEP_1)
	v_ashrrev_i32_e32 v84, 31, v50
.LBB6_1916:                             ;   Parent Loop BB6_1826 Depth=1
                                        ; =>  This Inner Loop Header: Depth=2
	s_waitcnt lgkmcnt(0)
	v_add_co_u32 v85, s10, v17, v50
	s_delay_alu instid0(VALU_DEP_1)
	v_add_co_ci_u32_e64 v86, s10, v18, v84, s10
	v_sub_nc_u32_e32 v23, v23, v27
	v_add_co_u32 v50, s11, v50, v35
	global_load_b128 v[96:99], v[85:86], off slc dlc
	v_sub_nc_u32_e32 v83, v83, v25
	v_cmp_gt_i32_e64 s10, 16, v23
	v_add_co_ci_u32_e64 v84, s11, v84, v36, s11
	s_delay_alu instid0(VALU_DEP_2)
	s_or_b32 s22, s10, s22
	s_waitcnt vmcnt(0)
	global_store_b128 v[85:86], v[96:99], off glc slc dlc
	s_and_not1_b32 exec_lo, exec_lo, s22
	s_cbranch_execnz .LBB6_1916
; %bb.1917:                             ;   in Loop: Header=BB6_1826 Depth=1
	s_or_b32 exec_lo, exec_lo, s22
.LBB6_1918:                             ;   in Loop: Header=BB6_1826 Depth=1
	s_delay_alu instid0(SALU_CYCLE_1) | instskip(SKIP_3) | instid1(VALU_DEP_1)
	s_or_b32 exec_lo, exec_lo, s21
	v_and_b32_e32 v17, 14, v22
	s_mov_b32 s11, 0
	s_mov_b32 s21, exec_lo
                                        ; implicit-def: $vgpr50
                                        ; implicit-def: $vgpr84
	v_dual_mov_b32 v23, 0 :: v_dual_cndmask_b32 v22, v82, v17
	s_delay_alu instid0(VALU_DEP_1)
	v_cmpx_ne_u32_e32 0, v22
; %bb.1919:                             ;   in Loop: Header=BB6_1826 Depth=1
	v_cmp_lt_i32_e64 s10, 0, v83
	v_sub_nc_u32_e32 v17, v82, v17
	s_mov_b32 s11, exec_lo
	s_delay_alu instid0(VALU_DEP_2) | instskip(NEXT) | instid1(VALU_DEP_1)
	v_cndmask_b32_e64 v18, 0, v25, s10
	v_sub_nc_u32_e32 v18, v18, v83
	s_delay_alu instid0(VALU_DEP_1) | instskip(NEXT) | instid1(VALU_DEP_1)
	v_lshl_add_u32 v50, v18, 5, v51
	v_ashrrev_i32_e32 v18, 31, v50
	s_delay_alu instid0(VALU_DEP_1) | instskip(NEXT) | instid1(VALU_DEP_1)
	v_lshrrev_b32_e32 v18, 27, v18
	v_dual_cndmask_b32 v17, 0, v17 :: v_dual_add_nc_u32 v18, v50, v18
	s_delay_alu instid0(VALU_DEP_1) | instskip(NEXT) | instid1(VALU_DEP_2)
	v_add3_u32 v23, v20, v19, v17
	v_ashrrev_i32_e32 v84, 5, v18
; %bb.1920:                             ;   in Loop: Header=BB6_1826 Depth=1
	s_or_b32 exec_lo, exec_lo, s21
	s_delay_alu instid0(SALU_CYCLE_1)
	s_and_b32 s10, s11, exec_lo
.LBB6_1921:                             ;   in Loop: Header=BB6_1826 Depth=1
	s_or_b32 exec_lo, exec_lo, s20
.LBB6_1922:                             ;   in Loop: Header=BB6_1826 Depth=1
	s_and_saveexec_b32 s11, s10
	s_cbranch_execz .LBB6_1933
; %bb.1923:                             ;   in Loop: Header=BB6_1826 Depth=1
	v_ashrrev_i32_e32 v17, 31, v22
	s_mov_b32 s10, exec_lo
	s_delay_alu instid0(VALU_DEP_1) | instskip(NEXT) | instid1(VALU_DEP_1)
	v_lshrrev_b32_e32 v17, 22, v17
	v_add_nc_u32_e32 v17, v22, v17
	s_delay_alu instid0(VALU_DEP_1) | instskip(NEXT) | instid1(VALU_DEP_1)
	v_ashrrev_i32_e32 v82, 10, v17
	v_sub_nc_u32_e32 v51, v82, v84
	s_delay_alu instid0(VALU_DEP_1)
	v_cmpx_lt_i32_e32 0, v51
	s_cbranch_execz .LBB6_1928
; %bb.1924:                             ;   in Loop: Header=BB6_1826 Depth=1
	s_cbranch_execnz .LBB6_2188
; %bb.1925:                             ;   in Loop: Header=BB6_1826 Depth=1
	v_ashrrev_i32_e32 v17, 31, v50
	s_mov_b32 s20, 0
	s_delay_alu instid0(VALU_DEP_1) | instskip(NEXT) | instid1(VALU_DEP_1)
	v_lshrrev_b32_e32 v17, 27, v17
	v_add_nc_u32_e32 v17, v50, v17
	s_delay_alu instid0(VALU_DEP_1) | instskip(SKIP_3) | instid1(VALU_DEP_1)
	v_and_b32_e32 v19, 0x7fffffe0, v17
	ds_load_b64 v[17:18], v0
	v_lshlrev_b32_e32 v20, 10, v84
	v_sub_nc_u32_e32 v19, v50, v19
	v_lshlrev_b32_e32 v19, 1, v19
	s_delay_alu instid0(VALU_DEP_1) | instskip(NEXT) | instid1(VALU_DEP_1)
	v_add3_u32 v83, v19, v23, v20
	v_ashrrev_i32_e32 v84, 31, v83
	s_waitcnt lgkmcnt(0)
	v_dual_mov_b32 v20, v18 :: v_dual_mov_b32 v19, v17
.LBB6_1926:                             ;   Parent Loop BB6_1826 Depth=1
                                        ; =>  This Inner Loop Header: Depth=2
	s_delay_alu instid0(VALU_DEP_1) | instskip(NEXT) | instid1(VALU_DEP_2)
	v_add_co_u32 v85, vcc_lo, v83, v19
	v_add_co_ci_u32_e32 v86, vcc_lo, v84, v20, vcc_lo
	v_sub_nc_u32_e32 v51, v51, v25
	s_clause 0xf
	flat_load_u16 v87, v[85:86] slc dlc
	flat_load_u16 v96, v[85:86] offset:64 slc dlc
	flat_load_u16 v97, v[85:86] offset:128 slc dlc
	;; [unrolled: 1-line block ×15, first 2 shown]
	v_add_co_u32 v85, vcc_lo, v83, v17
	v_add_co_ci_u32_e32 v86, vcc_lo, v84, v18, vcc_lo
	v_add_co_u32 v19, vcc_lo, v19, v37
	v_add_co_ci_u32_e32 v20, vcc_lo, v20, v38, vcc_lo
	;; [unrolled: 2-line block ×3, first 2 shown]
	v_cmp_gt_i32_e32 vcc_lo, 1, v51
	s_waitcnt vmcnt(15) lgkmcnt(15)
	flat_store_b16 v[85:86], v87 glc slc dlc
	s_waitcnt vmcnt(14) lgkmcnt(15)
	flat_store_b16 v[85:86], v96 offset:64 glc slc dlc
	s_waitcnt vmcnt(13) lgkmcnt(15)
	flat_store_b16 v[85:86], v97 offset:128 glc slc dlc
	;; [unrolled: 2-line block ×15, first 2 shown]
	s_or_b32 s20, vcc_lo, s20
	s_delay_alu instid0(SALU_CYCLE_1)
	s_and_not1_b32 exec_lo, exec_lo, s20
	s_cbranch_execnz .LBB6_1926
; %bb.1927:                             ;   in Loop: Header=BB6_1826 Depth=1
	s_or_b32 exec_lo, exec_lo, s20
.LBB6_1928:                             ;   in Loop: Header=BB6_1826 Depth=1
	s_delay_alu instid0(SALU_CYCLE_1) | instskip(SKIP_1) | instid1(VALU_DEP_1)
	s_or_b32 exec_lo, exec_lo, s10
	v_lshlrev_b32_e32 v17, 10, v82
	v_cmp_ne_u32_e32 vcc_lo, v22, v17
	s_and_b32 exec_lo, exec_lo, vcc_lo
	s_cbranch_execz .LBB6_1933
; %bb.1929:                             ;   in Loop: Header=BB6_1826 Depth=1
	v_ashrrev_i32_e32 v18, 31, v50
	v_lshlrev_b32_e32 v19, 5, v51
	s_delay_alu instid0(VALU_DEP_2) | instskip(NEXT) | instid1(VALU_DEP_1)
	v_lshrrev_b32_e32 v18, 27, v18
	v_add_nc_u32_e32 v18, v50, v18
	s_delay_alu instid0(VALU_DEP_1) | instskip(NEXT) | instid1(VALU_DEP_1)
	v_and_b32_e32 v18, 0xffffffe0, v18
	v_sub_nc_u32_e32 v18, v50, v18
	s_delay_alu instid0(VALU_DEP_1) | instskip(NEXT) | instid1(VALU_DEP_1)
	v_sub_nc_u32_e32 v18, v18, v19
	v_ashrrev_i32_e32 v19, 31, v18
	s_delay_alu instid0(VALU_DEP_1) | instskip(NEXT) | instid1(VALU_DEP_1)
	v_lshrrev_b32_e32 v19, 27, v19
	v_add_nc_u32_e32 v19, v18, v19
	s_delay_alu instid0(VALU_DEP_1) | instskip(SKIP_1) | instid1(VALU_DEP_2)
	v_and_b32_e32 v20, 0x7fffffe0, v19
	v_lshlrev_b32_e32 v19, 1, v19
	v_sub_nc_u32_e32 v18, v18, v20
	s_delay_alu instid0(VALU_DEP_2) | instskip(NEXT) | instid1(VALU_DEP_2)
	v_and_b32_e32 v19, 0xffffffc0, v19
	v_lshlrev_b32_e32 v18, 1, v18
	s_delay_alu instid0(VALU_DEP_1) | instskip(NEXT) | instid1(VALU_DEP_1)
	v_add3_u32 v20, v19, v18, v17
	v_sub_nc_u32_e32 v19, v22, v20
	s_delay_alu instid0(VALU_DEP_1)
	v_cmp_lt_i32_e32 vcc_lo, 1, v19
	s_and_b32 exec_lo, exec_lo, vcc_lo
	s_cbranch_execz .LBB6_1933
; %bb.1930:                             ;   in Loop: Header=BB6_1826 Depth=1
	s_cbranch_execnz .LBB6_2228
; %bb.1931:                             ;   in Loop: Header=BB6_1826 Depth=1
	ds_load_b64 v[17:18], v0
	v_add_nc_u32_e32 v20, v20, v23
	s_mov_b32 s20, 0
	s_delay_alu instid0(VALU_DEP_1)
	v_ashrrev_i32_e32 v22, 31, v20
.LBB6_1932:                             ;   Parent Loop BB6_1826 Depth=1
                                        ; =>  This Inner Loop Header: Depth=2
	s_waitcnt lgkmcnt(0)
	v_add_co_u32 v50, vcc_lo, v17, v20
	s_delay_alu instid0(VALU_DEP_2)
	v_add_co_ci_u32_e32 v51, vcc_lo, v18, v22, vcc_lo
	v_sub_nc_u32_e32 v19, v19, v34
	v_add_co_u32 v20, s10, v20, v39
	flat_load_u16 v23, v[50:51] slc dlc
	v_add_co_ci_u32_e64 v22, s10, v22, v48, s10
	v_cmp_gt_i32_e32 vcc_lo, 2, v19
	s_or_b32 s20, vcc_lo, s20
	s_waitcnt vmcnt(0) lgkmcnt(0)
	flat_store_b16 v[50:51], v23 glc slc dlc
	s_and_not1_b32 exec_lo, exec_lo, s20
	s_cbranch_execnz .LBB6_1932
.LBB6_1933:                             ;   in Loop: Header=BB6_1826 Depth=1
	s_or_b32 exec_lo, exec_lo, s11
	v_cmp_ne_u32_e64 s10, 0, v10
.LBB6_1934:                             ;   in Loop: Header=BB6_1826 Depth=1
	s_and_saveexec_b32 s11, s2
	s_cbranch_execz .LBB6_1956
; %bb.1935:                             ;   in Loop: Header=BB6_1826 Depth=1
	s_and_saveexec_b32 s20, s3
	s_delay_alu instid0(SALU_CYCLE_1)
	s_xor_b32 s20, exec_lo, s20
	s_cbranch_execz .LBB6_1953
; %bb.1936:                             ;   in Loop: Header=BB6_1826 Depth=1
	s_and_saveexec_b32 s21, s4
	s_cbranch_execz .LBB6_1952
; %bb.1937:                             ;   in Loop: Header=BB6_1826 Depth=1
	s_mov_b32 s23, exec_lo
	s_mov_b32 s22, exec_lo
	v_mbcnt_lo_u32_b32 v10, s23, 0
	s_waitcnt lgkmcnt(0)
	s_waitcnt_vscnt null, 0x0
	buffer_gl1_inv
	buffer_gl0_inv
	v_cmpx_eq_u32_e32 0, v10
	s_cbranch_execz .LBB6_1939
; %bb.1938:                             ;   in Loop: Header=BB6_1826 Depth=1
	s_bcnt1_i32_b32 s23, s23
	s_delay_alu instid0(SALU_CYCLE_1)
	v_mov_b32_e32 v10, s23
	ds_add_u64 v0, v[10:11]
	s_cbranch_execnz .LBB6_2218
.LBB6_1939:                             ;   in Loop: Header=BB6_1826 Depth=1
	s_or_b32 exec_lo, exec_lo, s22
	s_cbranch_execnz .LBB6_2204
; %bb.1940:                             ;   in Loop: Header=BB6_1826 Depth=1
	ds_load_b64 v[17:18], v0
	v_add_co_u32 v68, vcc_lo, v68, v25
	v_add_co_ci_u32_e32 v69, vcc_lo, 0, v69, vcc_lo
	s_mov_b32 s22, exec_lo
	s_waitcnt lgkmcnt(0)
	s_delay_alu instid0(VALU_DEP_1)
	v_cmpx_lt_u64_e64 v[17:18], v[68:69]
	s_cbranch_execz .LBB6_1951
; %bb.1941:                             ;   in Loop: Header=BB6_1826 Depth=1
	s_mov_b32 s23, 0
	s_mov_b32 s26, 0
                                        ; implicit-def: $sgpr24
                                        ; implicit-def: $sgpr25
	s_branch .LBB6_1943
.LBB6_1942:                             ;   in Loop: Header=BB6_1943 Depth=2
	s_or_b32 exec_lo, exec_lo, s29
	s_delay_alu instid0(SALU_CYCLE_1) | instskip(NEXT) | instid1(SALU_CYCLE_1)
	s_and_b32 s27, exec_lo, s28
	s_or_b32 s23, s27, s23
	s_and_not1_b32 s24, s24, exec_lo
	s_and_b32 s27, s25, exec_lo
	s_delay_alu instid0(SALU_CYCLE_1)
	s_or_b32 s24, s24, s27
	s_and_not1_b32 exec_lo, exec_lo, s23
	s_cbranch_execz .LBB6_1949
.LBB6_1943:                             ;   Parent Loop BB6_1826 Depth=1
                                        ; =>  This Inner Loop Header: Depth=2
	s_add_i32 s26, s26, 1
                                        ; implicit-def: $sgpr28
	s_delay_alu instid0(SALU_CYCLE_1) | instskip(SKIP_1) | instid1(SALU_CYCLE_1)
	s_cmpk_lg_i32 s26, 0x2710
	s_cselect_b32 s27, -1, 0
	s_and_b32 vcc_lo, exec_lo, s27
	s_cbranch_vccz .LBB6_1947
.LBB6_1944:                             ;   in Loop: Header=BB6_1943 Depth=2
	s_and_not1_b32 s25, s25, exec_lo
	s_and_b32 s29, s28, exec_lo
	s_mov_b32 s28, -1
	s_or_b32 s25, s25, s29
	s_and_saveexec_b32 s29, s27
	s_cbranch_execz .LBB6_1942
; %bb.1945:                             ;   in Loop: Header=BB6_1943 Depth=2
	s_sleep 1
	s_cbranch_execnz .LBB6_2262
; %bb.1946:                             ;   in Loop: Header=BB6_1943 Depth=2
	ds_load_b64 v[17:18], v0
	s_and_not1_b32 s25, s25, exec_lo
	s_waitcnt lgkmcnt(0)
	v_cmp_ge_u64_e32 vcc_lo, v[17:18], v[68:69]
	s_or_not1_b32 s28, vcc_lo, exec_lo
	s_branch .LBB6_1942
.LBB6_1947:                             ;   in Loop: Header=BB6_1943 Depth=2
	s_cbranch_execnz .LBB6_2274
; %bb.1948:                             ;   in Loop: Header=BB6_1943 Depth=2
	ds_load_b64 v[17:18], v0
	s_and_not1_b32 s27, s27, exec_lo
	s_mov_b32 s26, 0
	s_mov_b32 s28, -1
	s_waitcnt lgkmcnt(0)
	flat_load_b32 v10, v[17:18] glc
	s_waitcnt vmcnt(0) lgkmcnt(0)
	buffer_gl1_inv
	buffer_gl0_inv
	v_cmp_eq_u32_e32 vcc_lo, 0, v10
	s_and_b32 s29, vcc_lo, exec_lo
	s_delay_alu instid0(SALU_CYCLE_1)
	s_or_b32 s27, s27, s29
	s_branch .LBB6_1944
.LBB6_1949:                             ;   in Loop: Header=BB6_1826 Depth=1
	s_or_b32 exec_lo, exec_lo, s23
	s_and_saveexec_b32 s23, s24
	s_delay_alu instid0(SALU_CYCLE_1)
	s_xor_b32 s23, exec_lo, s23
	s_cbranch_execz .LBB6_1951
; %bb.1950:                             ;   in Loop: Header=BB6_1826 Depth=1
	ds_store_b32 v0, v49
	s_cbranch_execnz .LBB6_2312
.LBB6_1951:                             ;   in Loop: Header=BB6_1826 Depth=1
	s_or_b32 exec_lo, exec_lo, s22
	;;#ASMSTART
	s_wakeup
	;;#ASMEND
.LBB6_1952:                             ;   in Loop: Header=BB6_1826 Depth=1
	s_or_b32 exec_lo, exec_lo, s21
.LBB6_1953:                             ;   in Loop: Header=BB6_1826 Depth=1
	s_and_not1_saveexec_b32 s20, s20
	s_cbranch_execz .LBB6_1955
; %bb.1954:                             ;   in Loop: Header=BB6_1826 Depth=1
	s_waitcnt lgkmcnt(0)
	s_waitcnt_vscnt null, 0x0
	buffer_gl1_inv
	buffer_gl0_inv
	s_barrier
.LBB6_1955:                             ;   in Loop: Header=BB6_1826 Depth=1
	s_or_b32 exec_lo, exec_lo, s20
.LBB6_1956:                             ;   in Loop: Header=BB6_1826 Depth=1
	s_delay_alu instid0(SALU_CYCLE_1) | instskip(SKIP_1) | instid1(VALU_DEP_1)
	s_or_b32 exec_lo, exec_lo, s11
	v_and_b32_e32 v10, 16, v102
	v_cmp_ne_u32_e32 vcc_lo, 0, v10
	s_and_b32 s11, vcc_lo, s10
	s_delay_alu instid0(SALU_CYCLE_1)
	s_and_saveexec_b32 s10, s11
	s_cbranch_execz .LBB6_1958
; %bb.1957:                             ;   in Loop: Header=BB6_1826 Depth=1
	s_waitcnt lgkmcnt(0)
	s_waitcnt_vscnt null, 0x0
	buffer_gl1_inv
	buffer_gl0_inv
.LBB6_1958:                             ;   in Loop: Header=BB6_1826 Depth=1
	s_or_b32 exec_lo, exec_lo, s10
	s_delay_alu instid0(SALU_CYCLE_1)
	s_mov_b32 s10, exec_lo
	v_cmpx_ne_u32_e32 0, v10
	s_cbranch_execz .LBB6_1962
; %bb.1959:                             ;   in Loop: Header=BB6_1826 Depth=1
	s_and_saveexec_b32 s11, s7
	s_cbranch_execz .LBB6_1961
; %bb.1960:                             ;   in Loop: Header=BB6_1826 Depth=1
	s_waitcnt lgkmcnt(0)
	s_waitcnt_vscnt null, 0x0
	flat_store_b32 v[80:81], v49
.LBB6_1961:                             ;   in Loop: Header=BB6_1826 Depth=1
	s_or_b32 exec_lo, exec_lo, s11
	v_add_co_u32 v8, vcc_lo, v8, 1
	v_add_co_ci_u32_e32 v9, vcc_lo, 0, v9, vcc_lo
	s_waitcnt lgkmcnt(0)
	s_waitcnt_vscnt null, 0x0
	flat_store_b64 v[54:55], v[8:9]
.LBB6_1962:                             ;   in Loop: Header=BB6_1826 Depth=1
	s_or_b32 exec_lo, exec_lo, s10
	v_mov_b32_e32 v10, v21
.LBB6_1963:                             ;   in Loop: Header=BB6_1826 Depth=1
	s_or_b32 exec_lo, exec_lo, s19
	s_and_saveexec_b32 s11, s18
	s_cbranch_execz .LBB6_2020
; %bb.1964:                             ;   in Loop: Header=BB6_1826 Depth=1
	v_and_b32_e32 v17, 8, v102
	s_mov_b32 s18, -1
	s_mov_b32 s10, exec_lo
	s_delay_alu instid0(VALU_DEP_1)
	v_cmpx_ne_u32_e32 0, v17
	s_cbranch_execz .LBB6_1978
; %bb.1965:                             ;   in Loop: Header=BB6_1826 Depth=1
	v_add_co_u32 v19, vcc_lo, v66, 8
	s_waitcnt lgkmcnt(0)
	v_add_co_ci_u32_e32 v20, vcc_lo, 0, v67, vcc_lo
	v_add_co_u32 v17, vcc_lo, v8, 1
	v_add_co_ci_u32_e32 v18, vcc_lo, 0, v9, vcc_lo
	s_delay_alu instid0(VALU_DEP_1)
	v_cmp_lt_u64_e32 vcc_lo, v[19:20], v[17:18]
	v_mov_b32_e32 v19, 1
	s_and_saveexec_b32 s18, vcc_lo
	s_cbranch_execz .LBB6_1977
; %bb.1966:                             ;   in Loop: Header=BB6_1826 Depth=1
	v_mov_b32_e32 v19, 0
	s_mov_b32 s19, 0
                                        ; implicit-def: $sgpr20
	s_branch .LBB6_1970
.LBB6_1967:                             ;   in Loop: Header=BB6_1970 Depth=2
	s_or_b32 exec_lo, exec_lo, s24
	v_mov_b32_e32 v20, 0
	s_or_not1_b32 s23, s23, exec_lo
.LBB6_1968:                             ;   in Loop: Header=BB6_1970 Depth=2
	s_or_b32 exec_lo, exec_lo, s22
	s_delay_alu instid0(VALU_DEP_1) | instskip(SKIP_2) | instid1(SALU_CYCLE_1)
	v_mov_b32_e32 v19, v20
	s_and_not1_b32 s20, s20, exec_lo
	s_and_b32 s22, s23, exec_lo
	s_or_b32 s20, s20, s22
.LBB6_1969:                             ;   in Loop: Header=BB6_1970 Depth=2
	s_or_b32 exec_lo, exec_lo, s21
	s_waitcnt vmcnt(0) lgkmcnt(0)
	v_add_co_u32 v22, vcc_lo, v66, 8
	v_add_co_ci_u32_e32 v23, vcc_lo, 0, v67, vcc_lo
	s_xor_b32 s21, s20, -1
	s_delay_alu instid0(VALU_DEP_1) | instskip(SKIP_1) | instid1(SALU_CYCLE_1)
	v_cmp_ge_u64_e32 vcc_lo, v[22:23], v[17:18]
	s_or_b32 s21, s21, vcc_lo
	s_and_b32 s21, exec_lo, s21
	s_delay_alu instid0(SALU_CYCLE_1) | instskip(NEXT) | instid1(SALU_CYCLE_1)
	s_or_b32 s19, s21, s19
	s_and_not1_b32 exec_lo, exec_lo, s19
	s_cbranch_execz .LBB6_1976
.LBB6_1970:                             ;   Parent Loop BB6_1826 Depth=1
                                        ; =>  This Inner Loop Header: Depth=2
	s_sleep 1
	flat_load_b64 v[66:67], v[54:55] glc
	v_and_b32_e32 v20, 64, v102
	s_and_not1_b32 s20, s20, exec_lo
	s_mov_b32 s21, exec_lo
	s_delay_alu instid0(VALU_DEP_1)
	v_cmpx_eq_u32_e32 0, v20
	s_cbranch_execz .LBB6_1969
; %bb.1971:                             ;   in Loop: Header=BB6_1970 Depth=2
	v_add_nc_u32_e32 v20, 1, v19
	s_mov_b32 s23, -1
	s_mov_b32 s22, exec_lo
	v_cmpx_lt_i32_e32 0x270e, v19
	s_cbranch_execz .LBB6_1968
; %bb.1972:                             ;   in Loop: Header=BB6_1970 Depth=2
	s_cbranch_execnz .LBB6_2109
; %bb.1973:                             ;   in Loop: Header=BB6_1970 Depth=2
	ds_load_b64 v[19:20], v0
	s_mov_b32 s24, exec_lo
	s_waitcnt vmcnt(0) lgkmcnt(0)
	s_waitcnt_vscnt null, 0x0
	flat_load_b32 v19, v[19:20] glc
	s_waitcnt vmcnt(0) lgkmcnt(0)
	buffer_gl1_inv
	buffer_gl0_inv
	v_cmpx_ne_u32_e32 0, v19
	s_cbranch_execz .LBB6_1967
; %bb.1974:                             ;   in Loop: Header=BB6_1970 Depth=2
	ds_store_b32 v0, v19
	s_cbranch_execnz .LBB6_2146
; %bb.1975:                             ;   in Loop: Header=BB6_1970 Depth=2
	v_or_b32_e32 v102, 64, v102
	s_xor_b32 s23, exec_lo, -1
	s_branch .LBB6_1967
.LBB6_1976:                             ;   in Loop: Header=BB6_1826 Depth=1
	s_or_b32 exec_lo, exec_lo, s19
	v_and_b32_e32 v19, 8, v102
.LBB6_1977:                             ;   in Loop: Header=BB6_1826 Depth=1
	s_or_b32 exec_lo, exec_lo, s18
	s_delay_alu instid0(VALU_DEP_1)
	v_cmp_eq_u32_e32 vcc_lo, 0, v19
	;;#ASMSTART
	s_wakeup
	;;#ASMEND
	s_or_not1_b32 s18, vcc_lo, exec_lo
.LBB6_1978:                             ;   in Loop: Header=BB6_1826 Depth=1
	s_or_b32 exec_lo, exec_lo, s10
	v_sub_nc_u32_e32 v10, v16, v10
	s_xor_b32 s18, s18, -1
	s_delay_alu instid0(VALU_DEP_1)
	v_min_i32_e32 v16, v21, v10
	s_and_saveexec_b32 s10, s18
	s_cbranch_execz .LBB6_1986
; %bb.1979:                             ;   in Loop: Header=BB6_1826 Depth=1
	v_and_b32_e32 v10, 0x100, v102
	s_mov_b32 s19, 0
	s_mov_b32 s18, exec_lo
                                        ; implicit-def: $vgpr20_vgpr21
	s_delay_alu instid0(VALU_DEP_1)
	v_cmpx_ne_u32_e32 0, v10
	s_xor_b32 s18, exec_lo, s18
                                        ; implicit-def: $vgpr18_vgpr19
	s_cbranch_execnz .LBB6_1994
; %bb.1980:                             ;   in Loop: Header=BB6_1826 Depth=1
	s_and_not1_saveexec_b32 s18, s18
	s_cbranch_execnz .LBB6_1997
.LBB6_1981:                             ;   in Loop: Header=BB6_1826 Depth=1
	s_or_b32 exec_lo, exec_lo, s18
	s_and_saveexec_b32 s18, s19
	s_cbranch_execz .LBB6_1983
.LBB6_1982:                             ;   in Loop: Header=BB6_1826 Depth=1
	v_mul_lo_u32 v10, v11, v112
	v_mul_lo_u32 v17, v18, v24
	s_waitcnt lgkmcnt(0)
	v_mad_u64_u32 v[20:21], null, v18, v112, 0
	s_delay_alu instid0(VALU_DEP_1)
	v_add3_u32 v21, v21, v17, v10
.LBB6_1983:                             ;   in Loop: Header=BB6_1826 Depth=1
	s_or_b32 exec_lo, exec_lo, s18
	s_waitcnt lgkmcnt(0)
	s_delay_alu instid0(VALU_DEP_1) | instskip(SKIP_2) | instid1(VALU_DEP_2)
	v_lshlrev_b64 v[17:18], 1, v[20:21]
	v_and_b32_e32 v10, 0x2000, v102
	s_mov_b32 s18, exec_lo
	v_add_co_u32 v17, vcc_lo, v64, v17
	s_delay_alu instid0(VALU_DEP_3)
	v_add_co_ci_u32_e32 v18, vcc_lo, v65, v18, vcc_lo
	ds_store_b64 v0, v[17:18] offset:784
	v_cmpx_ne_u32_e32 0, v10
	s_cbranch_execz .LBB6_1985
; %bb.1984:                             ;   in Loop: Header=BB6_1826 Depth=1
	ds_load_b64 v[17:18], v0 offset:584
	s_waitcnt lgkmcnt(0)
	v_add_co_u32 v17, vcc_lo, v17, 1
	v_add_co_ci_u32_e32 v18, vcc_lo, 0, v18, vcc_lo
	ds_store_b64 v0, v[17:18] offset:584
.LBB6_1985:                             ;   in Loop: Header=BB6_1826 Depth=1
	s_or_b32 exec_lo, exec_lo, s18
	v_add_co_u32 v8, vcc_lo, v8, 1
	v_add_co_ci_u32_e32 v9, vcc_lo, 0, v9, vcc_lo
.LBB6_1986:                             ;   in Loop: Header=BB6_1826 Depth=1
	s_or_b32 exec_lo, exec_lo, s10
	s_and_saveexec_b32 s10, s2
	s_cbranch_execz .LBB6_2012
; %bb.1987:                             ;   in Loop: Header=BB6_1826 Depth=1
	s_and_saveexec_b32 s18, s3
	s_delay_alu instid0(SALU_CYCLE_1)
	s_xor_b32 s18, exec_lo, s18
	s_cbranch_execz .LBB6_2009
; %bb.1988:                             ;   in Loop: Header=BB6_1826 Depth=1
	s_and_saveexec_b32 s19, s4
	s_cbranch_execz .LBB6_2008
; %bb.1989:                             ;   in Loop: Header=BB6_1826 Depth=1
	s_mov_b32 s21, exec_lo
	s_mov_b32 s20, exec_lo
	v_mbcnt_lo_u32_b32 v10, s21, 0
	s_waitcnt lgkmcnt(0)
	s_waitcnt_vscnt null, 0x0
	buffer_gl1_inv
	buffer_gl0_inv
	v_cmpx_eq_u32_e32 0, v10
	s_cbranch_execz .LBB6_1991
; %bb.1990:                             ;   in Loop: Header=BB6_1826 Depth=1
	s_bcnt1_i32_b32 s21, s21
	s_delay_alu instid0(SALU_CYCLE_1)
	v_mov_b32_e32 v10, s21
	ds_add_u64 v0, v[10:11]
	s_cbranch_execnz .LBB6_2166
.LBB6_1991:                             ;   in Loop: Header=BB6_1826 Depth=1
	s_or_b32 exec_lo, exec_lo, s20
	s_cbranch_execnz .LBB6_2150
; %bb.1992:                             ;   in Loop: Header=BB6_1826 Depth=1
	ds_load_b64 v[17:18], v0
	v_add_co_u32 v68, vcc_lo, v68, v25
	v_add_co_ci_u32_e32 v69, vcc_lo, 0, v69, vcc_lo
	s_mov_b32 s20, exec_lo
	s_waitcnt lgkmcnt(0)
	s_delay_alu instid0(VALU_DEP_1)
	v_cmpx_lt_u64_e64 v[17:18], v[68:69]
	s_cbranch_execz .LBB6_2007
; %bb.1993:                             ;   in Loop: Header=BB6_1826 Depth=1
	s_mov_b32 s21, 0
	s_mov_b32 s24, 0
                                        ; implicit-def: $sgpr22
                                        ; implicit-def: $sgpr23
	s_branch .LBB6_1999
.LBB6_1994:                             ;   in Loop: Header=BB6_1826 Depth=1
	s_waitcnt lgkmcnt(0)
	v_and_b32_e32 v18, 7, v8
	v_ashrrev_i32_e32 v17, 31, v16
	s_mov_b32 s19, -1
	s_mov_b32 s20, exec_lo
	s_delay_alu instid0(VALU_DEP_2) | instskip(NEXT) | instid1(VALU_DEP_2)
	v_mad_u64_u32 v[22:23], null, v18, 24, v[6:7]
	v_lshlrev_b64 v[19:20], 1, v[16:17]
	flat_load_b32 v10, v[22:23]
	flat_store_b64 v[22:23], v[19:20] offset:8
                                        ; implicit-def: $vgpr20_vgpr21
	s_waitcnt vmcnt(0) lgkmcnt(1)
	v_cmpx_eq_u32_e32 1, v10
	s_cbranch_execz .LBB6_1996
; %bb.1995:                             ;   in Loop: Header=BB6_1826 Depth=1
	flat_load_b32 v17, v[22:23] offset:4 glc
	s_xor_b32 s19, exec_lo, -1
	s_waitcnt vmcnt(0) lgkmcnt(0)
	v_ashrrev_i32_e32 v18, 31, v17
	s_delay_alu instid0(VALU_DEP_1)
	v_lshrrev_b64 v[20:21], 1, v[17:18]
                                        ; implicit-def: $vgpr18_vgpr19
.LBB6_1996:                             ;   in Loop: Header=BB6_1826 Depth=1
	s_or_b32 exec_lo, exec_lo, s20
	s_delay_alu instid0(SALU_CYCLE_1)
	s_and_b32 s19, s19, exec_lo
	s_and_not1_saveexec_b32 s18, s18
	s_cbranch_execz .LBB6_1981
.LBB6_1997:                             ;   in Loop: Header=BB6_1826 Depth=1
	s_waitcnt lgkmcnt(0)
	v_and_b32_e32 v18, 7, v8
	s_or_b32 s19, s19, exec_lo
                                        ; implicit-def: $vgpr20_vgpr21
	s_or_b32 exec_lo, exec_lo, s18
	s_and_saveexec_b32 s18, s19
	s_cbranch_execnz .LBB6_1982
	s_branch .LBB6_1983
.LBB6_1998:                             ;   in Loop: Header=BB6_1999 Depth=2
	s_or_b32 exec_lo, exec_lo, s27
	s_delay_alu instid0(SALU_CYCLE_1) | instskip(NEXT) | instid1(SALU_CYCLE_1)
	s_and_b32 s25, exec_lo, s26
	s_or_b32 s21, s25, s21
	s_and_not1_b32 s22, s22, exec_lo
	s_and_b32 s25, s23, exec_lo
	s_delay_alu instid0(SALU_CYCLE_1)
	s_or_b32 s22, s22, s25
	s_and_not1_b32 exec_lo, exec_lo, s21
	s_cbranch_execz .LBB6_2005
.LBB6_1999:                             ;   Parent Loop BB6_1826 Depth=1
                                        ; =>  This Inner Loop Header: Depth=2
	s_add_i32 s24, s24, 1
                                        ; implicit-def: $sgpr26
	s_delay_alu instid0(SALU_CYCLE_1) | instskip(SKIP_1) | instid1(SALU_CYCLE_1)
	s_cmpk_lg_i32 s24, 0x2710
	s_cselect_b32 s25, -1, 0
	s_and_b32 vcc_lo, exec_lo, s25
	s_cbranch_vccz .LBB6_2003
.LBB6_2000:                             ;   in Loop: Header=BB6_1999 Depth=2
	s_and_not1_b32 s23, s23, exec_lo
	s_and_b32 s27, s26, exec_lo
	s_mov_b32 s26, -1
	s_or_b32 s23, s23, s27
	s_and_saveexec_b32 s27, s25
	s_cbranch_execz .LBB6_1998
; %bb.2001:                             ;   in Loop: Header=BB6_1999 Depth=2
	s_sleep 1
	s_cbranch_execnz .LBB6_2202
; %bb.2002:                             ;   in Loop: Header=BB6_1999 Depth=2
	ds_load_b64 v[17:18], v0
	s_and_not1_b32 s23, s23, exec_lo
	s_waitcnt lgkmcnt(0)
	v_cmp_ge_u64_e32 vcc_lo, v[17:18], v[68:69]
	s_or_not1_b32 s26, vcc_lo, exec_lo
	s_branch .LBB6_1998
.LBB6_2003:                             ;   in Loop: Header=BB6_1999 Depth=2
	s_cbranch_execnz .LBB6_2206
; %bb.2004:                             ;   in Loop: Header=BB6_1999 Depth=2
	ds_load_b64 v[17:18], v0
	s_and_not1_b32 s25, s25, exec_lo
	s_mov_b32 s24, 0
	s_mov_b32 s26, -1
	s_waitcnt lgkmcnt(0)
	flat_load_b32 v10, v[17:18] glc
	s_waitcnt vmcnt(0) lgkmcnt(0)
	buffer_gl1_inv
	buffer_gl0_inv
	v_cmp_eq_u32_e32 vcc_lo, 0, v10
	s_and_b32 s27, vcc_lo, exec_lo
	s_delay_alu instid0(SALU_CYCLE_1)
	s_or_b32 s25, s25, s27
	s_branch .LBB6_2000
.LBB6_2005:                             ;   in Loop: Header=BB6_1826 Depth=1
	s_or_b32 exec_lo, exec_lo, s21
	s_and_saveexec_b32 s21, s22
	s_delay_alu instid0(SALU_CYCLE_1)
	s_xor_b32 s21, exec_lo, s21
	s_cbranch_execz .LBB6_2007
; %bb.2006:                             ;   in Loop: Header=BB6_1826 Depth=1
	ds_store_b32 v0, v49
	s_cbranch_execnz .LBB6_2296
.LBB6_2007:                             ;   in Loop: Header=BB6_1826 Depth=1
	s_or_b32 exec_lo, exec_lo, s20
	;;#ASMSTART
	s_wakeup
	;;#ASMEND
.LBB6_2008:                             ;   in Loop: Header=BB6_1826 Depth=1
	s_or_b32 exec_lo, exec_lo, s19
.LBB6_2009:                             ;   in Loop: Header=BB6_1826 Depth=1
	s_and_not1_saveexec_b32 s18, s18
	s_cbranch_execz .LBB6_2011
; %bb.2010:                             ;   in Loop: Header=BB6_1826 Depth=1
	s_waitcnt lgkmcnt(0)
	s_waitcnt_vscnt null, 0x0
	buffer_gl1_inv
	buffer_gl0_inv
	s_barrier
.LBB6_2011:                             ;   in Loop: Header=BB6_1826 Depth=1
	s_or_b32 exec_lo, exec_lo, s18
.LBB6_2012:                             ;   in Loop: Header=BB6_1826 Depth=1
	s_delay_alu instid0(SALU_CYCLE_1)
	s_or_b32 exec_lo, exec_lo, s10
	s_cbranch_execnz .LBB6_2095
; %bb.2013:                             ;   in Loop: Header=BB6_1826 Depth=1
	ds_load_b32 v10, v0
	v_cmp_lt_i32_e32 vcc_lo, 0, v16
	s_waitcnt lgkmcnt(0)
	v_readfirstlane_b32 s10, v10
	v_and_b32_e32 v10, 16, v102
	s_delay_alu instid0(VALU_DEP_2) | instskip(NEXT) | instid1(VALU_DEP_1)
	s_cmp_eq_u32 s10, 0
	v_cmp_ne_u32_e64 s10, 0, v10
	s_cselect_b32 s18, -1, 0
	s_delay_alu instid0(SALU_CYCLE_1)
	s_and_b32 s18, vcc_lo, s18
	s_delay_alu instid0(VALU_DEP_1) | instid1(SALU_CYCLE_1)
	s_and_b32 s18, s10, s18
	s_delay_alu instid0(SALU_CYCLE_1)
	s_and_saveexec_b32 s10, s18
	s_cbranch_execz .LBB6_2015
; %bb.2014:                             ;   in Loop: Header=BB6_1826 Depth=1
	s_waitcnt_vscnt null, 0x0
	buffer_gl1_inv
	buffer_gl0_inv
.LBB6_2015:                             ;   in Loop: Header=BB6_1826 Depth=1
	s_or_b32 exec_lo, exec_lo, s10
	s_delay_alu instid0(SALU_CYCLE_1)
	s_mov_b32 s10, exec_lo
	v_cmpx_ne_u32_e32 0, v10
	s_cbranch_execz .LBB6_2019
; %bb.2016:                             ;   in Loop: Header=BB6_1826 Depth=1
	s_and_saveexec_b32 s18, s7
	s_cbranch_execz .LBB6_2018
; %bb.2017:                             ;   in Loop: Header=BB6_1826 Depth=1
	s_waitcnt_vscnt null, 0x0
	flat_store_b32 v[80:81], v49
.LBB6_2018:                             ;   in Loop: Header=BB6_1826 Depth=1
	s_or_b32 exec_lo, exec_lo, s18
	v_add_co_u32 v8, vcc_lo, v8, 1
	v_add_co_ci_u32_e32 v9, vcc_lo, 0, v9, vcc_lo
	s_waitcnt lgkmcnt(0)
	s_waitcnt_vscnt null, 0x0
	flat_store_b64 v[54:55], v[8:9]
.LBB6_2019:                             ;   in Loop: Header=BB6_1826 Depth=1
	s_or_b32 exec_lo, exec_lo, s10
.LBB6_2020:                             ;   in Loop: Header=BB6_1826 Depth=1
	s_delay_alu instid0(SALU_CYCLE_1) | instskip(SKIP_2) | instid1(VALU_DEP_1)
	s_or_b32 exec_lo, exec_lo, s11
	v_add_co_u32 v12, vcc_lo, v12, v70
	v_add_co_ci_u32_e32 v13, vcc_lo, 0, v13, vcc_lo
	v_cmp_ge_u64_e32 vcc_lo, v[12:13], v[4:5]
	s_or_b32 s14, vcc_lo, s14
	s_delay_alu instid0(SALU_CYCLE_1)
	s_and_not1_b32 exec_lo, exec_lo, s14
	s_cbranch_execnz .LBB6_1826
; %bb.2021:
	s_or_b32 exec_lo, exec_lo, s14
.LBB6_2022:
	s_delay_alu instid0(SALU_CYCLE_1)
	s_or_b32 exec_lo, exec_lo, s13
.LBB6_2023:
	s_delay_alu instid0(SALU_CYCLE_1) | instskip(SKIP_2) | instid1(VALU_DEP_1)
	s_or_b32 exec_lo, exec_lo, s12
	v_and_b32_e32 v0, 0x800, v102
	s_mov_b32 s0, exec_lo
	v_cmpx_eq_u32_e32 0, v0
	s_cbranch_execz .LBB6_2238
; %bb.2024:
	v_and_b32_e32 v0, 48, v102
	s_mov_b32 s1, exec_lo
	s_delay_alu instid0(VALU_DEP_1)
	v_cmpx_ne_u32_e32 0, v0
	s_cbranch_execz .LBB6_2026
; %bb.2025:
	s_waitcnt lgkmcnt(0)
	flat_store_b64 v[52:53], v[8:9] offset:104
.LBB6_2026:
	s_or_b32 exec_lo, exec_lo, s1
	v_and_b32_e32 v0, 0x88, v102
	s_mov_b32 s1, exec_lo
	s_delay_alu instid0(VALU_DEP_1)
	v_cmpx_eq_u32_e32 0x88, v0
	s_cbranch_execz .LBB6_2076
; %bb.2027:
	s_waitcnt lgkmcnt(0)
	v_add_nc_u32_e32 v0, -1, v8
	s_mov_b32 s2, 0
                                        ; implicit-def: $sgpr3
	s_delay_alu instid0(VALU_DEP_1) | instskip(NEXT) | instid1(VALU_DEP_1)
	v_and_b32_e32 v0, 7, v0
	v_mad_u64_u32 v[4:5], null, v0, 24, v[6:7]
	v_mov_b32_e32 v0, 0
	s_delay_alu instid0(VALU_DEP_2) | instskip(NEXT) | instid1(VALU_DEP_3)
	v_add_co_u32 v4, vcc_lo, v4, 8
	v_add_co_ci_u32_e32 v5, vcc_lo, 0, v5, vcc_lo
	s_branch .LBB6_2060
.LBB6_2028:
	s_trap 2
	s_sendmsg_rtn_b32 s0, sendmsg(MSG_RTN_GET_DOORBELL)
	s_mov_b32 ttmp2, m0
	s_waitcnt lgkmcnt(0)
	s_and_b32 s0, s0, 0x3ff
	s_delay_alu instid0(SALU_CYCLE_1) | instskip(NEXT) | instid1(SALU_CYCLE_1)
	s_bitset1_b32 s0, 10
	s_mov_b32 m0, s0
	s_sendmsg sendmsg(MSG_INTERRUPT)
	s_mov_b32 m0, ttmp2
.LBB6_2029:                             ; =>This Inner Loop Header: Depth=1
	s_sethalt 5
	s_branch .LBB6_2029
.LBB6_2030:
	v_bfe_u32 v10, v6, 8, 8
	v_not_b32_e32 v8, v8
	s_mov_b32 s1, exec_lo
                                        ; implicit-def: $vgpr17_vgpr18
                                        ; implicit-def: $vgpr4_vgpr5
                                        ; implicit-def: $vgpr82_vgpr83
	s_delay_alu instid0(VALU_DEP_2)
	v_cmpx_ne_u32_e64 v10, v9
	s_xor_b32 s1, exec_lo, s1
	s_cbranch_execz .LBB6_2032
; %bb.2031:
	s_clause 0x1
	flat_load_b128 v[4:7], v[2:3] offset:72
	flat_load_b64 v[10:11], v[2:3] offset:96
	v_add_nc_u32_e32 v8, v9, v8
	s_delay_alu instid0(VALU_DEP_1) | instskip(SKIP_1) | instid1(VALU_DEP_1)
	v_ashrrev_i32_e32 v9, 31, v8
	s_waitcnt vmcnt(1) lgkmcnt(1)
	v_mul_lo_u32 v9, v6, v9
	v_mad_u64_u32 v[82:83], null, v6, v8, v[4:5]
	v_mul_lo_u32 v4, v7, v8
	s_waitcnt vmcnt(0) lgkmcnt(0)
	v_lshrrev_b64 v[17:18], 13, v[10:11]
                                        ; implicit-def: $vgpr10
                                        ; implicit-def: $vgpr8
	s_delay_alu instid0(VALU_DEP_2)
	v_add3_u32 v83, v4, v83, v9
	v_dual_mov_b32 v4, v6 :: v_dual_mov_b32 v5, v7
.LBB6_2032:
	s_and_not1_saveexec_b32 s1, s1
	s_cbranch_execz .LBB6_2034
; %bb.2033:
	s_clause 0x1
	flat_load_b128 v[17:20], v[2:3] offset:72
	flat_load_b128 v[4:7], v[2:3] offset:88
	s_waitcnt vmcnt(0) lgkmcnt(0)
	v_add_nc_u32_e32 v6, v10, v8
	s_delay_alu instid0(VALU_DEP_1) | instskip(NEXT) | instid1(VALU_DEP_1)
	v_ashrrev_i32_e32 v8, 31, v6
	v_mul_lo_u32 v8, v19, v8
	v_mad_u64_u32 v[82:83], null, v19, v6, v[17:18]
	v_mul_lo_u32 v6, v20, v6
	v_lshrrev_b32_e32 v17, 2, v7
	s_delay_alu instid0(VALU_DEP_2)
	v_add3_u32 v83, v6, v83, v8
.LBB6_2034:
	s_or_b32 exec_lo, exec_lo, s1
	s_and_not1_saveexec_b32 s0, s0
	s_cbranch_execz .LBB6_3
.LBB6_2035:
	s_clause 0x1
	flat_load_b64 v[6:7], v[2:3] offset:96
	flat_load_b64 v[4:5], v[2:3] offset:72
	v_mov_b32_e32 v82, 0
	v_mov_b32_e32 v83, 0
	s_waitcnt vmcnt(1) lgkmcnt(1)
	v_lshlrev_b64 v[17:18], 8, v[6:7]
	s_or_b32 exec_lo, exec_lo, s0
	s_cbranch_execz .LBB6_4
.LBB6_2036:
	s_trap 2
	s_sendmsg_rtn_b32 s0, sendmsg(MSG_RTN_GET_DOORBELL)
	s_mov_b32 ttmp2, m0
	s_waitcnt lgkmcnt(0)
	s_and_b32 s0, s0, 0x3ff
	s_delay_alu instid0(SALU_CYCLE_1) | instskip(NEXT) | instid1(SALU_CYCLE_1)
	s_bitset1_b32 s0, 10
	s_mov_b32 m0, s0
	s_sendmsg sendmsg(MSG_INTERRUPT)
	s_mov_b32 m0, ttmp2
.LBB6_2037:                             ; =>This Inner Loop Header: Depth=1
	s_sethalt 5
	s_branch .LBB6_2037
.LBB6_2038:
	s_trap 2
	s_sendmsg_rtn_b32 s0, sendmsg(MSG_RTN_GET_DOORBELL)
	s_mov_b32 ttmp2, m0
	s_waitcnt lgkmcnt(0)
	s_and_b32 s0, s0, 0x3ff
	s_delay_alu instid0(SALU_CYCLE_1) | instskip(NEXT) | instid1(SALU_CYCLE_1)
	s_bitset1_b32 s0, 10
	s_mov_b32 m0, s0
	s_sendmsg sendmsg(MSG_INTERRUPT)
	s_mov_b32 m0, ttmp2
.LBB6_2039:                             ; =>This Inner Loop Header: Depth=1
	s_sethalt 5
	s_branch .LBB6_2039
.LBB6_2040:
	s_trap 2
	s_sendmsg_rtn_b32 s0, sendmsg(MSG_RTN_GET_DOORBELL)
	s_mov_b32 ttmp2, m0
	s_waitcnt lgkmcnt(0)
	s_and_b32 s0, s0, 0x3ff
	s_delay_alu instid0(SALU_CYCLE_1) | instskip(NEXT) | instid1(SALU_CYCLE_1)
	s_bitset1_b32 s0, 10
	s_mov_b32 m0, s0
	s_sendmsg sendmsg(MSG_INTERRUPT)
	s_mov_b32 m0, ttmp2
.LBB6_2041:                             ; =>This Inner Loop Header: Depth=1
	s_sethalt 5
	s_branch .LBB6_2041
.LBB6_2042:
	s_trap 2
	s_sendmsg_rtn_b32 s0, sendmsg(MSG_RTN_GET_DOORBELL)
	s_mov_b32 ttmp2, m0
	s_waitcnt lgkmcnt(0)
	s_and_b32 s0, s0, 0x3ff
	s_delay_alu instid0(SALU_CYCLE_1) | instskip(NEXT) | instid1(SALU_CYCLE_1)
	s_bitset1_b32 s0, 10
	s_mov_b32 m0, s0
	s_sendmsg sendmsg(MSG_INTERRUPT)
	s_mov_b32 m0, ttmp2
.LBB6_2043:                             ; =>This Inner Loop Header: Depth=1
	s_sethalt 5
	s_branch .LBB6_2043
.LBB6_2044:
	s_trap 2
	s_sendmsg_rtn_b32 s0, sendmsg(MSG_RTN_GET_DOORBELL)
	s_mov_b32 ttmp2, m0
	s_waitcnt lgkmcnt(0)
	s_and_b32 s0, s0, 0x3ff
	s_delay_alu instid0(SALU_CYCLE_1) | instskip(NEXT) | instid1(SALU_CYCLE_1)
	s_bitset1_b32 s0, 10
	s_mov_b32 m0, s0
	s_sendmsg sendmsg(MSG_INTERRUPT)
	s_mov_b32 m0, ttmp2
.LBB6_2045:                             ; =>This Inner Loop Header: Depth=1
	s_sethalt 5
	s_branch .LBB6_2045
.LBB6_2046:
	s_trap 2
	s_sendmsg_rtn_b32 s0, sendmsg(MSG_RTN_GET_DOORBELL)
	s_mov_b32 ttmp2, m0
	s_waitcnt lgkmcnt(0)
	s_and_b32 s0, s0, 0x3ff
	s_delay_alu instid0(SALU_CYCLE_1) | instskip(NEXT) | instid1(SALU_CYCLE_1)
	s_bitset1_b32 s0, 10
	s_mov_b32 m0, s0
	s_sendmsg sendmsg(MSG_INTERRUPT)
	s_mov_b32 m0, ttmp2
.LBB6_2047:                             ; =>This Inner Loop Header: Depth=1
	s_sethalt 5
	s_branch .LBB6_2047
.LBB6_2048:
	s_trap 2
	s_sendmsg_rtn_b32 s0, sendmsg(MSG_RTN_GET_DOORBELL)
	s_mov_b32 ttmp2, m0
	s_waitcnt lgkmcnt(0)
	s_and_b32 s0, s0, 0x3ff
	s_delay_alu instid0(SALU_CYCLE_1) | instskip(NEXT) | instid1(SALU_CYCLE_1)
	s_bitset1_b32 s0, 10
	s_mov_b32 m0, s0
	s_sendmsg sendmsg(MSG_INTERRUPT)
	s_mov_b32 m0, ttmp2
.LBB6_2049:                             ; =>This Inner Loop Header: Depth=1
	s_sethalt 5
	s_branch .LBB6_2049
.LBB6_2050:
	s_trap 2
	s_sendmsg_rtn_b32 s0, sendmsg(MSG_RTN_GET_DOORBELL)
	s_mov_b32 ttmp2, m0
	s_waitcnt lgkmcnt(0)
	s_and_b32 s0, s0, 0x3ff
	s_delay_alu instid0(SALU_CYCLE_1) | instskip(NEXT) | instid1(SALU_CYCLE_1)
	s_bitset1_b32 s0, 10
	s_mov_b32 m0, s0
	s_sendmsg sendmsg(MSG_INTERRUPT)
	s_mov_b32 m0, ttmp2
.LBB6_2051:                             ; =>This Inner Loop Header: Depth=1
	s_sethalt 5
	s_branch .LBB6_2051
.LBB6_2052:
	s_trap 2
	s_sendmsg_rtn_b32 s0, sendmsg(MSG_RTN_GET_DOORBELL)
	s_mov_b32 ttmp2, m0
	s_waitcnt lgkmcnt(0)
	s_and_b32 s0, s0, 0x3ff
	s_delay_alu instid0(SALU_CYCLE_1) | instskip(NEXT) | instid1(SALU_CYCLE_1)
	s_bitset1_b32 s0, 10
	s_mov_b32 m0, s0
	s_sendmsg sendmsg(MSG_INTERRUPT)
	s_mov_b32 m0, ttmp2
.LBB6_2053:                             ; =>This Inner Loop Header: Depth=1
	s_sethalt 5
	s_branch .LBB6_2053
.LBB6_2054:
	s_trap 2
	s_sendmsg_rtn_b32 s0, sendmsg(MSG_RTN_GET_DOORBELL)
	s_mov_b32 ttmp2, m0
	s_waitcnt lgkmcnt(0)
	s_and_b32 s0, s0, 0x3ff
	s_delay_alu instid0(SALU_CYCLE_1) | instskip(NEXT) | instid1(SALU_CYCLE_1)
	s_bitset1_b32 s0, 10
	s_mov_b32 m0, s0
	s_sendmsg sendmsg(MSG_INTERRUPT)
	s_mov_b32 m0, ttmp2
.LBB6_2055:                             ; =>This Inner Loop Header: Depth=1
	s_sethalt 5
	s_branch .LBB6_2055
.LBB6_2056:                             ;   in Loop: Header=BB6_2060 Depth=1
	s_or_b32 exec_lo, exec_lo, s10
	v_mov_b32_e32 v6, 0
	s_or_not1_b32 s7, s7, exec_lo
.LBB6_2057:                             ;   in Loop: Header=BB6_2060 Depth=1
	s_or_b32 exec_lo, exec_lo, s6
	s_delay_alu instid0(VALU_DEP_1)
	v_mov_b32_e32 v0, v6
	s_and_b32 s6, s7, exec_lo
.LBB6_2058:                             ;   in Loop: Header=BB6_2060 Depth=1
	s_or_b32 exec_lo, exec_lo, s5
	s_xor_b32 s5, s6, -1
	s_and_not1_b32 s3, s3, exec_lo
	s_and_b32 s5, s5, exec_lo
	s_delay_alu instid0(SALU_CYCLE_1)
	s_or_b32 s3, s3, s5
.LBB6_2059:                             ;   in Loop: Header=BB6_2060 Depth=1
	s_or_b32 exec_lo, exec_lo, s4
	s_delay_alu instid0(SALU_CYCLE_1) | instskip(NEXT) | instid1(SALU_CYCLE_1)
	s_and_b32 s4, exec_lo, s3
	s_or_b32 s2, s4, s2
	s_delay_alu instid0(SALU_CYCLE_1)
	s_and_not1_b32 exec_lo, exec_lo, s2
	s_cbranch_execz .LBB6_2075
.LBB6_2060:                             ; =>This Inner Loop Header: Depth=1
	flat_load_b64 v[6:7], v[4:5] glc dlc
	s_waitcnt vmcnt(0)
	s_or_b32 s3, s3, exec_lo
	s_mov_b32 s4, exec_lo
	s_waitcnt lgkmcnt(0)
	v_cmpx_ne_u64_e32 -1, v[6:7]
	s_cbranch_execz .LBB6_2059
; %bb.2061:                             ;   in Loop: Header=BB6_2060 Depth=1
	v_and_b32_e32 v6, 64, v102
	s_mov_b32 s6, 0
	s_mov_b32 s5, exec_lo
	s_delay_alu instid0(VALU_DEP_1)
	v_cmpx_eq_u32_e32 0, v6
	s_cbranch_execz .LBB6_2058
; %bb.2062:                             ;   in Loop: Header=BB6_2060 Depth=1
	v_add_nc_u32_e32 v6, 1, v0
	s_mov_b32 s7, -1
	s_mov_b32 s6, exec_lo
	v_cmpx_lt_i32_e32 0x270e, v0
	s_cbranch_execz .LBB6_2057
; %bb.2063:                             ;   in Loop: Header=BB6_2060 Depth=1
	s_cbranch_execnz .LBB6_2067
; %bb.2064:                             ;   in Loop: Header=BB6_2060 Depth=1
	ds_load_b64 v[6:7], v0
	s_mov_b32 s10, exec_lo
	s_waitcnt lgkmcnt(0)
	s_waitcnt_vscnt null, 0x0
	flat_load_b32 v0, v[6:7] glc
	s_waitcnt vmcnt(0) lgkmcnt(0)
	buffer_gl1_inv
	buffer_gl0_inv
	v_cmpx_ne_u32_e32 0, v0
	s_cbranch_execz .LBB6_2056
; %bb.2065:                             ;   in Loop: Header=BB6_2060 Depth=1
	ds_store_b32 v0, v0
	s_cbranch_execnz .LBB6_2089
; %bb.2066:                             ;   in Loop: Header=BB6_2060 Depth=1
	v_or_b32_e32 v102, 64, v102
	s_xor_b32 s7, exec_lo, -1
	s_branch .LBB6_2056
.LBB6_2067:
	s_trap 2
	s_sendmsg_rtn_b32 s0, sendmsg(MSG_RTN_GET_DOORBELL)
	s_mov_b32 ttmp2, m0
	s_waitcnt lgkmcnt(0)
	s_and_b32 s0, s0, 0x3ff
	s_delay_alu instid0(SALU_CYCLE_1) | instskip(NEXT) | instid1(SALU_CYCLE_1)
	s_bitset1_b32 s0, 10
	s_mov_b32 m0, s0
	s_sendmsg sendmsg(MSG_INTERRUPT)
	s_mov_b32 m0, ttmp2
.LBB6_2068:                             ; =>This Inner Loop Header: Depth=1
	s_sethalt 5
	s_branch .LBB6_2068
.LBB6_2069:
	s_trap 2
	s_sendmsg_rtn_b32 s0, sendmsg(MSG_RTN_GET_DOORBELL)
	s_mov_b32 ttmp2, m0
	s_waitcnt lgkmcnt(0)
	s_and_b32 s0, s0, 0x3ff
	s_delay_alu instid0(SALU_CYCLE_1) | instskip(NEXT) | instid1(SALU_CYCLE_1)
	s_bitset1_b32 s0, 10
	s_mov_b32 m0, s0
	s_sendmsg sendmsg(MSG_INTERRUPT)
	s_mov_b32 m0, ttmp2
.LBB6_2070:                             ; =>This Inner Loop Header: Depth=1
	s_sethalt 5
	s_branch .LBB6_2070
.LBB6_2071:
	s_trap 2
	s_sendmsg_rtn_b32 s0, sendmsg(MSG_RTN_GET_DOORBELL)
	s_mov_b32 ttmp2, m0
	s_waitcnt lgkmcnt(0)
	s_and_b32 s0, s0, 0x3ff
	s_delay_alu instid0(SALU_CYCLE_1) | instskip(NEXT) | instid1(SALU_CYCLE_1)
	s_bitset1_b32 s0, 10
	s_mov_b32 m0, s0
	s_sendmsg sendmsg(MSG_INTERRUPT)
	s_mov_b32 m0, ttmp2
.LBB6_2072:                             ; =>This Inner Loop Header: Depth=1
	s_sethalt 5
	s_branch .LBB6_2072
.LBB6_2073:
	s_trap 2
	s_sendmsg_rtn_b32 s0, sendmsg(MSG_RTN_GET_DOORBELL)
	s_mov_b32 ttmp2, m0
	s_waitcnt lgkmcnt(0)
	s_and_b32 s0, s0, 0x3ff
	s_delay_alu instid0(SALU_CYCLE_1) | instskip(NEXT) | instid1(SALU_CYCLE_1)
	s_bitset1_b32 s0, 10
	s_mov_b32 m0, s0
	s_sendmsg sendmsg(MSG_INTERRUPT)
	s_mov_b32 m0, ttmp2
.LBB6_2074:                             ; =>This Inner Loop Header: Depth=1
	s_sethalt 5
	s_branch .LBB6_2074
.LBB6_2075:
	s_or_b32 exec_lo, exec_lo, s2
.LBB6_2076:
	s_delay_alu instid0(SALU_CYCLE_1) | instskip(SKIP_2) | instid1(VALU_DEP_1)
	s_or_b32 exec_lo, exec_lo, s1
	v_and_b32_e32 v0, 0x2000, v102
	s_mov_b32 s1, exec_lo
	v_cmpx_ne_u32_e32 0, v0
	s_cbranch_execz .LBB6_2079
; %bb.2077:
	s_cbranch_execnz .LBB6_2087
; %bb.2078:
	ds_load_b64 v[4:5], v0
	s_waitcnt lgkmcnt(0)
	flat_store_b64 v[2:3], v[4:5] offset:16
.LBB6_2079:
	s_or_b32 exec_lo, exec_lo, s1
	v_cmp_ne_u32_e32 vcc_lo, 32, v1
	s_and_b32 exec_lo, exec_lo, vcc_lo
	s_cbranch_execz .LBB6_2238
; %bb.2080:
	s_mov_b32 s1, exec_lo
	v_cmpx_ne_u32_e64 v103, v1
	s_xor_b32 s1, exec_lo, s1
	s_cbranch_execz .LBB6_2236
; %bb.2081:
	v_and_b32_e32 v0, 31, v31
	s_mov_b32 s2, exec_lo
	s_delay_alu instid0(VALU_DEP_1)
	v_cmpx_eq_u32_e32 0, v0
	s_cbranch_execz .LBB6_2235
; %bb.2082:
	s_mov_b32 s4, exec_lo
	s_mov_b32 s3, exec_lo
	v_mbcnt_lo_u32_b32 v0, s4, 0
	s_waitcnt lgkmcnt(0)
	s_waitcnt_vscnt null, 0x0
	buffer_gl1_inv
	buffer_gl0_inv
	v_cmpx_eq_u32_e32 0, v0
	s_cbranch_execz .LBB6_2084
; %bb.2083:
	s_bcnt1_i32_b32 s4, s4
	s_delay_alu instid0(SALU_CYCLE_1)
	v_dual_mov_b32 v3, 0 :: v_dual_mov_b32 v2, s4
	ds_add_u64 v0, v[2:3]
	s_cbranch_execnz .LBB6_2132
.LBB6_2084:
	s_or_b32 exec_lo, exec_lo, s3
	s_cbranch_execnz .LBB6_2115
; %bb.2085:
	v_ashrrev_i32_e32 v0, 31, v1
	s_mov_b32 s3, exec_lo
	s_delay_alu instid0(VALU_DEP_1) | instskip(NEXT) | instid1(VALU_DEP_1)
	v_lshrrev_b32_e32 v0, 27, v0
	v_add_nc_u32_e32 v0, v1, v0
	ds_load_b64 v[2:3], v0
	v_ashrrev_i32_e32 v0, 5, v0
	s_delay_alu instid0(VALU_DEP_1) | instskip(SKIP_1) | instid1(VALU_DEP_2)
	v_ashrrev_i32_e32 v1, 31, v0
	v_add_co_u32 v0, vcc_lo, v68, v0
	v_add_co_ci_u32_e32 v1, vcc_lo, v69, v1, vcc_lo
	s_waitcnt lgkmcnt(0)
	s_delay_alu instid0(VALU_DEP_1)
	v_cmpx_lt_u64_e64 v[2:3], v[0:1]
	s_cbranch_execz .LBB6_2234
; %bb.2086:
	s_mov_b32 s4, 0
	s_mov_b32 s7, 0
                                        ; implicit-def: $sgpr5
                                        ; implicit-def: $sgpr6
	s_branch .LBB6_2122
.LBB6_2087:
	s_trap 2
	s_sendmsg_rtn_b32 s0, sendmsg(MSG_RTN_GET_DOORBELL)
	s_mov_b32 ttmp2, m0
	s_waitcnt lgkmcnt(0)
	s_and_b32 s0, s0, 0x3ff
	s_delay_alu instid0(SALU_CYCLE_1) | instskip(NEXT) | instid1(SALU_CYCLE_1)
	s_bitset1_b32 s0, 10
	s_mov_b32 m0, s0
	s_sendmsg sendmsg(MSG_INTERRUPT)
	s_mov_b32 m0, ttmp2
.LBB6_2088:                             ; =>This Inner Loop Header: Depth=1
	s_sethalt 5
	s_branch .LBB6_2088
.LBB6_2089:
	s_trap 2
	s_sendmsg_rtn_b32 s0, sendmsg(MSG_RTN_GET_DOORBELL)
	s_mov_b32 ttmp2, m0
	s_waitcnt lgkmcnt(0)
	s_and_b32 s0, s0, 0x3ff
	s_delay_alu instid0(SALU_CYCLE_1) | instskip(NEXT) | instid1(SALU_CYCLE_1)
	s_bitset1_b32 s0, 10
	s_mov_b32 m0, s0
	s_sendmsg sendmsg(MSG_INTERRUPT)
	s_mov_b32 m0, ttmp2
.LBB6_2090:                             ; =>This Inner Loop Header: Depth=1
	s_sethalt 5
	s_branch .LBB6_2090
.LBB6_2091:
	s_trap 2
	s_sendmsg_rtn_b32 s0, sendmsg(MSG_RTN_GET_DOORBELL)
	s_mov_b32 ttmp2, m0
	s_waitcnt lgkmcnt(0)
	s_and_b32 s0, s0, 0x3ff
	s_delay_alu instid0(SALU_CYCLE_1) | instskip(NEXT) | instid1(SALU_CYCLE_1)
	s_bitset1_b32 s0, 10
	s_mov_b32 m0, s0
	s_sendmsg sendmsg(MSG_INTERRUPT)
	s_mov_b32 m0, ttmp2
.LBB6_2092:                             ; =>This Inner Loop Header: Depth=1
	s_sethalt 5
	s_branch .LBB6_2092
.LBB6_2093:
	s_trap 2
	s_sendmsg_rtn_b32 s0, sendmsg(MSG_RTN_GET_DOORBELL)
	s_mov_b32 ttmp2, m0
	s_waitcnt lgkmcnt(0)
	s_and_b32 s0, s0, 0x3ff
	s_delay_alu instid0(SALU_CYCLE_1) | instskip(NEXT) | instid1(SALU_CYCLE_1)
	s_bitset1_b32 s0, 10
	s_mov_b32 m0, s0
	s_sendmsg sendmsg(MSG_INTERRUPT)
	s_mov_b32 m0, ttmp2
.LBB6_2094:                             ; =>This Inner Loop Header: Depth=1
	s_sethalt 5
	s_branch .LBB6_2094
.LBB6_2095:
	s_trap 2
	s_sendmsg_rtn_b32 s0, sendmsg(MSG_RTN_GET_DOORBELL)
	s_mov_b32 ttmp2, m0
	s_waitcnt lgkmcnt(0)
	s_and_b32 s0, s0, 0x3ff
	s_delay_alu instid0(SALU_CYCLE_1) | instskip(NEXT) | instid1(SALU_CYCLE_1)
	s_bitset1_b32 s0, 10
	s_mov_b32 m0, s0
	s_sendmsg sendmsg(MSG_INTERRUPT)
	s_mov_b32 m0, ttmp2
.LBB6_2096:                             ; =>This Inner Loop Header: Depth=1
	s_sethalt 5
	s_branch .LBB6_2096
.LBB6_2097:
	s_trap 2
	s_sendmsg_rtn_b32 s0, sendmsg(MSG_RTN_GET_DOORBELL)
	s_mov_b32 ttmp2, m0
	s_waitcnt lgkmcnt(0)
	s_and_b32 s0, s0, 0x3ff
	s_delay_alu instid0(SALU_CYCLE_1) | instskip(NEXT) | instid1(SALU_CYCLE_1)
	s_bitset1_b32 s0, 10
	s_mov_b32 m0, s0
	s_sendmsg sendmsg(MSG_INTERRUPT)
	s_mov_b32 m0, ttmp2
.LBB6_2098:                             ; =>This Inner Loop Header: Depth=1
	s_sethalt 5
	s_branch .LBB6_2098
.LBB6_2099:
	s_trap 2
	s_sendmsg_rtn_b32 s0, sendmsg(MSG_RTN_GET_DOORBELL)
	s_mov_b32 ttmp2, m0
	s_waitcnt lgkmcnt(0)
	s_and_b32 s0, s0, 0x3ff
	s_delay_alu instid0(SALU_CYCLE_1) | instskip(NEXT) | instid1(SALU_CYCLE_1)
	s_bitset1_b32 s0, 10
	s_mov_b32 m0, s0
	s_sendmsg sendmsg(MSG_INTERRUPT)
	s_mov_b32 m0, ttmp2
.LBB6_2100:                             ; =>This Inner Loop Header: Depth=1
	s_sethalt 5
	s_branch .LBB6_2100
.LBB6_2101:
	s_trap 2
	s_sendmsg_rtn_b32 s0, sendmsg(MSG_RTN_GET_DOORBELL)
	s_mov_b32 ttmp2, m0
	s_waitcnt lgkmcnt(0)
	s_and_b32 s0, s0, 0x3ff
	s_delay_alu instid0(SALU_CYCLE_1) | instskip(NEXT) | instid1(SALU_CYCLE_1)
	s_bitset1_b32 s0, 10
	s_mov_b32 m0, s0
	s_sendmsg sendmsg(MSG_INTERRUPT)
	s_mov_b32 m0, ttmp2
.LBB6_2102:                             ; =>This Inner Loop Header: Depth=1
	s_sethalt 5
	s_branch .LBB6_2102
.LBB6_2103:
	s_trap 2
	s_sendmsg_rtn_b32 s0, sendmsg(MSG_RTN_GET_DOORBELL)
	s_mov_b32 ttmp2, m0
	s_waitcnt lgkmcnt(0)
	s_and_b32 s0, s0, 0x3ff
	s_delay_alu instid0(SALU_CYCLE_1) | instskip(NEXT) | instid1(SALU_CYCLE_1)
	s_bitset1_b32 s0, 10
	s_mov_b32 m0, s0
	s_sendmsg sendmsg(MSG_INTERRUPT)
	s_mov_b32 m0, ttmp2
.LBB6_2104:                             ; =>This Inner Loop Header: Depth=1
	s_sethalt 5
	s_branch .LBB6_2104
.LBB6_2105:
	s_trap 2
	s_sendmsg_rtn_b32 s0, sendmsg(MSG_RTN_GET_DOORBELL)
	s_mov_b32 ttmp2, m0
	s_waitcnt lgkmcnt(0)
	s_and_b32 s0, s0, 0x3ff
	s_delay_alu instid0(SALU_CYCLE_1) | instskip(NEXT) | instid1(SALU_CYCLE_1)
	s_bitset1_b32 s0, 10
	s_mov_b32 m0, s0
	s_sendmsg sendmsg(MSG_INTERRUPT)
	s_mov_b32 m0, ttmp2
.LBB6_2106:                             ; =>This Inner Loop Header: Depth=1
	s_sethalt 5
	s_branch .LBB6_2106
.LBB6_2107:
	s_trap 2
	s_sendmsg_rtn_b32 s0, sendmsg(MSG_RTN_GET_DOORBELL)
	s_mov_b32 ttmp2, m0
	s_waitcnt lgkmcnt(0)
	s_and_b32 s0, s0, 0x3ff
	s_delay_alu instid0(SALU_CYCLE_1) | instskip(NEXT) | instid1(SALU_CYCLE_1)
	s_bitset1_b32 s0, 10
	s_mov_b32 m0, s0
	s_sendmsg sendmsg(MSG_INTERRUPT)
	s_mov_b32 m0, ttmp2
.LBB6_2108:                             ; =>This Inner Loop Header: Depth=1
	s_sethalt 5
	s_branch .LBB6_2108
.LBB6_2109:
	s_trap 2
	s_sendmsg_rtn_b32 s0, sendmsg(MSG_RTN_GET_DOORBELL)
	s_mov_b32 ttmp2, m0
	s_waitcnt lgkmcnt(0)
	s_and_b32 s0, s0, 0x3ff
	s_delay_alu instid0(SALU_CYCLE_1) | instskip(NEXT) | instid1(SALU_CYCLE_1)
	s_bitset1_b32 s0, 10
	s_mov_b32 m0, s0
	s_sendmsg sendmsg(MSG_INTERRUPT)
	s_mov_b32 m0, ttmp2
.LBB6_2110:                             ; =>This Inner Loop Header: Depth=1
	s_sethalt 5
	s_branch .LBB6_2110
.LBB6_2111:
	s_trap 2
	s_sendmsg_rtn_b32 s0, sendmsg(MSG_RTN_GET_DOORBELL)
	s_mov_b32 ttmp2, m0
	s_waitcnt lgkmcnt(0)
	s_and_b32 s0, s0, 0x3ff
	s_delay_alu instid0(SALU_CYCLE_1) | instskip(NEXT) | instid1(SALU_CYCLE_1)
	s_bitset1_b32 s0, 10
	s_mov_b32 m0, s0
	s_sendmsg sendmsg(MSG_INTERRUPT)
	s_mov_b32 m0, ttmp2
.LBB6_2112:                             ; =>This Inner Loop Header: Depth=1
	s_sethalt 5
	s_branch .LBB6_2112
.LBB6_2113:
	s_trap 2
	s_sendmsg_rtn_b32 s0, sendmsg(MSG_RTN_GET_DOORBELL)
	s_mov_b32 ttmp2, m0
	s_waitcnt lgkmcnt(0)
	s_and_b32 s0, s0, 0x3ff
	s_delay_alu instid0(SALU_CYCLE_1) | instskip(NEXT) | instid1(SALU_CYCLE_1)
	s_bitset1_b32 s0, 10
	s_mov_b32 m0, s0
	s_sendmsg sendmsg(MSG_INTERRUPT)
	s_mov_b32 m0, ttmp2
.LBB6_2114:                             ; =>This Inner Loop Header: Depth=1
	s_sethalt 5
	s_branch .LBB6_2114
.LBB6_2115:
	s_trap 2
	s_sendmsg_rtn_b32 s0, sendmsg(MSG_RTN_GET_DOORBELL)
	s_mov_b32 ttmp2, m0
	s_waitcnt lgkmcnt(0)
	s_and_b32 s0, s0, 0x3ff
	s_delay_alu instid0(SALU_CYCLE_1) | instskip(NEXT) | instid1(SALU_CYCLE_1)
	s_bitset1_b32 s0, 10
	s_mov_b32 m0, s0
	s_sendmsg sendmsg(MSG_INTERRUPT)
	s_mov_b32 m0, ttmp2
.LBB6_2116:                             ; =>This Inner Loop Header: Depth=1
	s_sethalt 5
	s_branch .LBB6_2116
.LBB6_2117:
	s_trap 2
	s_sendmsg_rtn_b32 s0, sendmsg(MSG_RTN_GET_DOORBELL)
	s_mov_b32 ttmp2, m0
	s_waitcnt lgkmcnt(0)
	s_and_b32 s0, s0, 0x3ff
	s_delay_alu instid0(SALU_CYCLE_1) | instskip(NEXT) | instid1(SALU_CYCLE_1)
	s_bitset1_b32 s0, 10
	s_mov_b32 m0, s0
	s_sendmsg sendmsg(MSG_INTERRUPT)
	s_mov_b32 m0, ttmp2
.LBB6_2118:                             ; =>This Inner Loop Header: Depth=1
	s_sethalt 5
	s_branch .LBB6_2118
.LBB6_2119:
	s_trap 2
	s_sendmsg_rtn_b32 s0, sendmsg(MSG_RTN_GET_DOORBELL)
	s_mov_b32 ttmp2, m0
	s_waitcnt lgkmcnt(0)
	s_and_b32 s0, s0, 0x3ff
	s_delay_alu instid0(SALU_CYCLE_1) | instskip(NEXT) | instid1(SALU_CYCLE_1)
	s_bitset1_b32 s0, 10
	s_mov_b32 m0, s0
	s_sendmsg sendmsg(MSG_INTERRUPT)
	s_mov_b32 m0, ttmp2
.LBB6_2120:                             ; =>This Inner Loop Header: Depth=1
	s_sethalt 5
	s_branch .LBB6_2120
.LBB6_2121:                             ;   in Loop: Header=BB6_2122 Depth=1
	s_or_b32 exec_lo, exec_lo, s12
	s_delay_alu instid0(SALU_CYCLE_1) | instskip(NEXT) | instid1(SALU_CYCLE_1)
	s_and_b32 s10, exec_lo, s11
	s_or_b32 s4, s10, s4
	s_and_not1_b32 s5, s5, exec_lo
	s_and_b32 s10, s6, exec_lo
	s_delay_alu instid0(SALU_CYCLE_1)
	s_or_b32 s5, s5, s10
	s_and_not1_b32 exec_lo, exec_lo, s4
	s_cbranch_execz .LBB6_2232
.LBB6_2122:                             ; =>This Inner Loop Header: Depth=1
	s_add_i32 s7, s7, 1
                                        ; implicit-def: $sgpr11
	s_delay_alu instid0(SALU_CYCLE_1) | instskip(SKIP_1) | instid1(SALU_CYCLE_1)
	s_cmpk_lg_i32 s7, 0x2710
	s_cselect_b32 s10, -1, 0
	s_and_b32 vcc_lo, exec_lo, s10
	s_cbranch_vccz .LBB6_2126
.LBB6_2123:                             ;   in Loop: Header=BB6_2122 Depth=1
	s_and_not1_b32 s6, s6, exec_lo
	s_and_b32 s12, s11, exec_lo
	s_mov_b32 s11, -1
	s_or_b32 s6, s6, s12
	s_and_saveexec_b32 s12, s10
	s_cbranch_execz .LBB6_2121
; %bb.2124:                             ;   in Loop: Header=BB6_2122 Depth=1
	s_sleep 1
	s_cbranch_execnz .LBB6_2148
; %bb.2125:                             ;   in Loop: Header=BB6_2122 Depth=1
	ds_load_b64 v[2:3], v0
	s_and_not1_b32 s6, s6, exec_lo
	s_waitcnt lgkmcnt(0)
	v_cmp_ge_u64_e32 vcc_lo, v[2:3], v[0:1]
	s_or_not1_b32 s11, vcc_lo, exec_lo
	s_branch .LBB6_2121
.LBB6_2126:                             ;   in Loop: Header=BB6_2122 Depth=1
	s_cbranch_execnz .LBB6_2156
; %bb.2127:                             ;   in Loop: Header=BB6_2122 Depth=1
	ds_load_b64 v[2:3], v0
	s_and_not1_b32 s10, s10, exec_lo
	s_mov_b32 s7, 0
	s_mov_b32 s11, -1
	s_waitcnt lgkmcnt(0)
	flat_load_b32 v2, v[2:3] glc
	s_waitcnt vmcnt(0) lgkmcnt(0)
	buffer_gl1_inv
	buffer_gl0_inv
	v_cmp_eq_u32_e32 vcc_lo, 0, v2
	s_and_b32 s12, vcc_lo, exec_lo
	s_delay_alu instid0(SALU_CYCLE_1)
	s_or_b32 s10, s10, s12
	s_branch .LBB6_2123
.LBB6_2128:
	s_trap 2
	s_sendmsg_rtn_b32 s0, sendmsg(MSG_RTN_GET_DOORBELL)
	s_mov_b32 ttmp2, m0
	s_waitcnt lgkmcnt(0)
	s_and_b32 s0, s0, 0x3ff
	s_delay_alu instid0(SALU_CYCLE_1) | instskip(NEXT) | instid1(SALU_CYCLE_1)
	s_bitset1_b32 s0, 10
	s_mov_b32 m0, s0
	s_sendmsg sendmsg(MSG_INTERRUPT)
	s_mov_b32 m0, ttmp2
.LBB6_2129:                             ; =>This Inner Loop Header: Depth=1
	s_sethalt 5
	s_branch .LBB6_2129
.LBB6_2130:
	s_trap 2
	s_sendmsg_rtn_b32 s0, sendmsg(MSG_RTN_GET_DOORBELL)
	s_mov_b32 ttmp2, m0
	s_waitcnt lgkmcnt(0)
	s_and_b32 s0, s0, 0x3ff
	s_delay_alu instid0(SALU_CYCLE_1) | instskip(NEXT) | instid1(SALU_CYCLE_1)
	s_bitset1_b32 s0, 10
	s_mov_b32 m0, s0
	s_sendmsg sendmsg(MSG_INTERRUPT)
	s_mov_b32 m0, ttmp2
.LBB6_2131:                             ; =>This Inner Loop Header: Depth=1
	s_sethalt 5
	s_branch .LBB6_2131
.LBB6_2132:
	s_trap 2
	s_sendmsg_rtn_b32 s0, sendmsg(MSG_RTN_GET_DOORBELL)
	s_mov_b32 ttmp2, m0
	s_waitcnt lgkmcnt(0)
	s_and_b32 s0, s0, 0x3ff
	s_delay_alu instid0(SALU_CYCLE_1) | instskip(NEXT) | instid1(SALU_CYCLE_1)
	s_bitset1_b32 s0, 10
	s_mov_b32 m0, s0
	s_sendmsg sendmsg(MSG_INTERRUPT)
	s_mov_b32 m0, ttmp2
.LBB6_2133:                             ; =>This Inner Loop Header: Depth=1
	s_sethalt 5
	s_branch .LBB6_2133
.LBB6_2134:
	s_trap 2
	s_sendmsg_rtn_b32 s0, sendmsg(MSG_RTN_GET_DOORBELL)
	s_mov_b32 ttmp2, m0
	s_waitcnt lgkmcnt(0)
	s_and_b32 s0, s0, 0x3ff
	s_delay_alu instid0(SALU_CYCLE_1) | instskip(NEXT) | instid1(SALU_CYCLE_1)
	s_bitset1_b32 s0, 10
	s_mov_b32 m0, s0
	s_sendmsg sendmsg(MSG_INTERRUPT)
	s_mov_b32 m0, ttmp2
.LBB6_2135:                             ; =>This Inner Loop Header: Depth=1
	s_sethalt 5
	s_branch .LBB6_2135
.LBB6_2136:
	s_trap 2
	s_sendmsg_rtn_b32 s0, sendmsg(MSG_RTN_GET_DOORBELL)
	s_mov_b32 ttmp2, m0
	s_waitcnt lgkmcnt(0)
	s_and_b32 s0, s0, 0x3ff
	s_delay_alu instid0(SALU_CYCLE_1) | instskip(NEXT) | instid1(SALU_CYCLE_1)
	s_bitset1_b32 s0, 10
	s_mov_b32 m0, s0
	s_sendmsg sendmsg(MSG_INTERRUPT)
	s_mov_b32 m0, ttmp2
.LBB6_2137:                             ; =>This Inner Loop Header: Depth=1
	s_sethalt 5
	s_branch .LBB6_2137
.LBB6_2138:
	s_trap 2
	s_sendmsg_rtn_b32 s0, sendmsg(MSG_RTN_GET_DOORBELL)
	s_mov_b32 ttmp2, m0
	s_waitcnt lgkmcnt(0)
	s_and_b32 s0, s0, 0x3ff
	s_delay_alu instid0(SALU_CYCLE_1) | instskip(NEXT) | instid1(SALU_CYCLE_1)
	s_bitset1_b32 s0, 10
	s_mov_b32 m0, s0
	s_sendmsg sendmsg(MSG_INTERRUPT)
	s_mov_b32 m0, ttmp2
.LBB6_2139:                             ; =>This Inner Loop Header: Depth=1
	s_sethalt 5
	s_branch .LBB6_2139
.LBB6_2140:
	s_trap 2
	s_sendmsg_rtn_b32 s0, sendmsg(MSG_RTN_GET_DOORBELL)
	s_mov_b32 ttmp2, m0
	s_waitcnt lgkmcnt(0)
	s_and_b32 s0, s0, 0x3ff
	s_delay_alu instid0(SALU_CYCLE_1) | instskip(NEXT) | instid1(SALU_CYCLE_1)
	s_bitset1_b32 s0, 10
	s_mov_b32 m0, s0
	s_sendmsg sendmsg(MSG_INTERRUPT)
	s_mov_b32 m0, ttmp2
.LBB6_2141:                             ; =>This Inner Loop Header: Depth=1
	s_sethalt 5
	s_branch .LBB6_2141
.LBB6_2142:
	s_trap 2
	s_sendmsg_rtn_b32 s0, sendmsg(MSG_RTN_GET_DOORBELL)
	s_mov_b32 ttmp2, m0
	s_waitcnt lgkmcnt(0)
	s_and_b32 s0, s0, 0x3ff
	s_delay_alu instid0(SALU_CYCLE_1) | instskip(NEXT) | instid1(SALU_CYCLE_1)
	s_bitset1_b32 s0, 10
	s_mov_b32 m0, s0
	s_sendmsg sendmsg(MSG_INTERRUPT)
	s_mov_b32 m0, ttmp2
.LBB6_2143:                             ; =>This Inner Loop Header: Depth=1
	s_sethalt 5
	s_branch .LBB6_2143
.LBB6_2144:
	s_trap 2
	s_sendmsg_rtn_b32 s0, sendmsg(MSG_RTN_GET_DOORBELL)
	s_mov_b32 ttmp2, m0
	s_waitcnt lgkmcnt(0)
	s_and_b32 s0, s0, 0x3ff
	s_delay_alu instid0(SALU_CYCLE_1) | instskip(NEXT) | instid1(SALU_CYCLE_1)
	s_bitset1_b32 s0, 10
	s_mov_b32 m0, s0
	s_sendmsg sendmsg(MSG_INTERRUPT)
	s_mov_b32 m0, ttmp2
.LBB6_2145:                             ; =>This Inner Loop Header: Depth=1
	s_sethalt 5
	s_branch .LBB6_2145
.LBB6_2146:
	s_trap 2
	s_sendmsg_rtn_b32 s0, sendmsg(MSG_RTN_GET_DOORBELL)
	s_mov_b32 ttmp2, m0
	s_waitcnt lgkmcnt(0)
	s_and_b32 s0, s0, 0x3ff
	s_delay_alu instid0(SALU_CYCLE_1) | instskip(NEXT) | instid1(SALU_CYCLE_1)
	s_bitset1_b32 s0, 10
	s_mov_b32 m0, s0
	s_sendmsg sendmsg(MSG_INTERRUPT)
	s_mov_b32 m0, ttmp2
.LBB6_2147:                             ; =>This Inner Loop Header: Depth=1
	s_sethalt 5
	s_branch .LBB6_2147
.LBB6_2148:
	s_trap 2
	s_sendmsg_rtn_b32 s0, sendmsg(MSG_RTN_GET_DOORBELL)
	s_mov_b32 ttmp2, m0
	s_waitcnt lgkmcnt(0)
	s_and_b32 s0, s0, 0x3ff
	s_delay_alu instid0(SALU_CYCLE_1) | instskip(NEXT) | instid1(SALU_CYCLE_1)
	s_bitset1_b32 s0, 10
	s_mov_b32 m0, s0
	s_sendmsg sendmsg(MSG_INTERRUPT)
	s_mov_b32 m0, ttmp2
.LBB6_2149:                             ; =>This Inner Loop Header: Depth=1
	s_sethalt 5
	s_branch .LBB6_2149
.LBB6_2150:
	s_trap 2
	s_sendmsg_rtn_b32 s0, sendmsg(MSG_RTN_GET_DOORBELL)
	s_mov_b32 ttmp2, m0
	s_waitcnt lgkmcnt(0)
	s_and_b32 s0, s0, 0x3ff
	s_delay_alu instid0(SALU_CYCLE_1) | instskip(NEXT) | instid1(SALU_CYCLE_1)
	s_bitset1_b32 s0, 10
	s_mov_b32 m0, s0
	s_sendmsg sendmsg(MSG_INTERRUPT)
	s_mov_b32 m0, ttmp2
.LBB6_2151:                             ; =>This Inner Loop Header: Depth=1
	s_sethalt 5
	s_branch .LBB6_2151
.LBB6_2152:
	s_trap 2
	s_sendmsg_rtn_b32 s0, sendmsg(MSG_RTN_GET_DOORBELL)
	s_mov_b32 ttmp2, m0
	s_waitcnt lgkmcnt(0)
	s_and_b32 s0, s0, 0x3ff
	s_delay_alu instid0(SALU_CYCLE_1) | instskip(NEXT) | instid1(SALU_CYCLE_1)
	s_bitset1_b32 s0, 10
	s_mov_b32 m0, s0
	s_sendmsg sendmsg(MSG_INTERRUPT)
	s_mov_b32 m0, ttmp2
.LBB6_2153:                             ; =>This Inner Loop Header: Depth=1
	s_sethalt 5
	s_branch .LBB6_2153
.LBB6_2154:
	s_trap 2
	s_sendmsg_rtn_b32 s0, sendmsg(MSG_RTN_GET_DOORBELL)
	s_mov_b32 ttmp2, m0
	s_waitcnt lgkmcnt(0)
	s_and_b32 s0, s0, 0x3ff
	s_delay_alu instid0(SALU_CYCLE_1) | instskip(NEXT) | instid1(SALU_CYCLE_1)
	s_bitset1_b32 s0, 10
	s_mov_b32 m0, s0
	s_sendmsg sendmsg(MSG_INTERRUPT)
	s_mov_b32 m0, ttmp2
.LBB6_2155:                             ; =>This Inner Loop Header: Depth=1
	s_sethalt 5
	s_branch .LBB6_2155
.LBB6_2156:
	s_trap 2
	s_sendmsg_rtn_b32 s0, sendmsg(MSG_RTN_GET_DOORBELL)
	s_mov_b32 ttmp2, m0
	s_waitcnt lgkmcnt(0)
	s_and_b32 s0, s0, 0x3ff
	s_delay_alu instid0(SALU_CYCLE_1) | instskip(NEXT) | instid1(SALU_CYCLE_1)
	s_bitset1_b32 s0, 10
	s_mov_b32 m0, s0
	s_sendmsg sendmsg(MSG_INTERRUPT)
	s_mov_b32 m0, ttmp2
.LBB6_2157:                             ; =>This Inner Loop Header: Depth=1
	s_sethalt 5
	s_branch .LBB6_2157
.LBB6_2158:
	s_trap 2
	s_sendmsg_rtn_b32 s0, sendmsg(MSG_RTN_GET_DOORBELL)
	s_mov_b32 ttmp2, m0
	s_waitcnt lgkmcnt(0)
	s_and_b32 s0, s0, 0x3ff
	s_delay_alu instid0(SALU_CYCLE_1) | instskip(NEXT) | instid1(SALU_CYCLE_1)
	s_bitset1_b32 s0, 10
	s_mov_b32 m0, s0
	s_sendmsg sendmsg(MSG_INTERRUPT)
	s_mov_b32 m0, ttmp2
.LBB6_2159:                             ; =>This Inner Loop Header: Depth=1
	s_sethalt 5
	s_branch .LBB6_2159
.LBB6_2160:
	s_trap 2
	s_sendmsg_rtn_b32 s0, sendmsg(MSG_RTN_GET_DOORBELL)
	s_mov_b32 ttmp2, m0
	s_waitcnt lgkmcnt(0)
	s_and_b32 s0, s0, 0x3ff
	s_delay_alu instid0(SALU_CYCLE_1) | instskip(NEXT) | instid1(SALU_CYCLE_1)
	s_bitset1_b32 s0, 10
	s_mov_b32 m0, s0
	s_sendmsg sendmsg(MSG_INTERRUPT)
	s_mov_b32 m0, ttmp2
.LBB6_2161:                             ; =>This Inner Loop Header: Depth=1
	s_sethalt 5
	s_branch .LBB6_2161
.LBB6_2162:
	s_trap 2
	s_sendmsg_rtn_b32 s0, sendmsg(MSG_RTN_GET_DOORBELL)
	s_mov_b32 ttmp2, m0
	s_waitcnt lgkmcnt(0)
	s_and_b32 s0, s0, 0x3ff
	s_delay_alu instid0(SALU_CYCLE_1) | instskip(NEXT) | instid1(SALU_CYCLE_1)
	s_bitset1_b32 s0, 10
	s_mov_b32 m0, s0
	s_sendmsg sendmsg(MSG_INTERRUPT)
	s_mov_b32 m0, ttmp2
.LBB6_2163:                             ; =>This Inner Loop Header: Depth=1
	s_sethalt 5
	s_branch .LBB6_2163
.LBB6_2164:
	s_trap 2
	s_sendmsg_rtn_b32 s0, sendmsg(MSG_RTN_GET_DOORBELL)
	s_mov_b32 ttmp2, m0
	s_waitcnt lgkmcnt(0)
	s_and_b32 s0, s0, 0x3ff
	s_delay_alu instid0(SALU_CYCLE_1) | instskip(NEXT) | instid1(SALU_CYCLE_1)
	s_bitset1_b32 s0, 10
	s_mov_b32 m0, s0
	s_sendmsg sendmsg(MSG_INTERRUPT)
	s_mov_b32 m0, ttmp2
.LBB6_2165:                             ; =>This Inner Loop Header: Depth=1
	s_sethalt 5
	s_branch .LBB6_2165
.LBB6_2166:
	s_trap 2
	s_sendmsg_rtn_b32 s0, sendmsg(MSG_RTN_GET_DOORBELL)
	s_mov_b32 ttmp2, m0
	s_waitcnt lgkmcnt(0)
	s_and_b32 s0, s0, 0x3ff
	s_delay_alu instid0(SALU_CYCLE_1) | instskip(NEXT) | instid1(SALU_CYCLE_1)
	s_bitset1_b32 s0, 10
	s_mov_b32 m0, s0
	s_sendmsg sendmsg(MSG_INTERRUPT)
	s_mov_b32 m0, ttmp2
.LBB6_2167:                             ; =>This Inner Loop Header: Depth=1
	s_sethalt 5
	s_branch .LBB6_2167
.LBB6_2168:
	s_trap 2
	s_sendmsg_rtn_b32 s0, sendmsg(MSG_RTN_GET_DOORBELL)
	s_mov_b32 ttmp2, m0
	s_waitcnt lgkmcnt(0)
	s_and_b32 s0, s0, 0x3ff
	s_delay_alu instid0(SALU_CYCLE_1) | instskip(NEXT) | instid1(SALU_CYCLE_1)
	s_bitset1_b32 s0, 10
	s_mov_b32 m0, s0
	s_sendmsg sendmsg(MSG_INTERRUPT)
	s_mov_b32 m0, ttmp2
.LBB6_2169:                             ; =>This Inner Loop Header: Depth=1
	s_sethalt 5
	s_branch .LBB6_2169
.LBB6_2170:
	s_trap 2
	s_sendmsg_rtn_b32 s0, sendmsg(MSG_RTN_GET_DOORBELL)
	s_mov_b32 ttmp2, m0
	s_waitcnt lgkmcnt(0)
	s_and_b32 s0, s0, 0x3ff
	s_delay_alu instid0(SALU_CYCLE_1) | instskip(NEXT) | instid1(SALU_CYCLE_1)
	s_bitset1_b32 s0, 10
	s_mov_b32 m0, s0
	s_sendmsg sendmsg(MSG_INTERRUPT)
	s_mov_b32 m0, ttmp2
.LBB6_2171:                             ; =>This Inner Loop Header: Depth=1
	s_sethalt 5
	s_branch .LBB6_2171
.LBB6_2172:
	s_trap 2
	s_sendmsg_rtn_b32 s0, sendmsg(MSG_RTN_GET_DOORBELL)
	s_mov_b32 ttmp2, m0
	s_waitcnt lgkmcnt(0)
	s_and_b32 s0, s0, 0x3ff
	s_delay_alu instid0(SALU_CYCLE_1) | instskip(NEXT) | instid1(SALU_CYCLE_1)
	s_bitset1_b32 s0, 10
	s_mov_b32 m0, s0
	s_sendmsg sendmsg(MSG_INTERRUPT)
	s_mov_b32 m0, ttmp2
.LBB6_2173:                             ; =>This Inner Loop Header: Depth=1
	s_sethalt 5
	s_branch .LBB6_2173
.LBB6_2174:
	s_trap 2
	s_sendmsg_rtn_b32 s0, sendmsg(MSG_RTN_GET_DOORBELL)
	s_mov_b32 ttmp2, m0
	s_waitcnt lgkmcnt(0)
	s_and_b32 s0, s0, 0x3ff
	s_delay_alu instid0(SALU_CYCLE_1) | instskip(NEXT) | instid1(SALU_CYCLE_1)
	s_bitset1_b32 s0, 10
	s_mov_b32 m0, s0
	s_sendmsg sendmsg(MSG_INTERRUPT)
	s_mov_b32 m0, ttmp2
.LBB6_2175:                             ; =>This Inner Loop Header: Depth=1
	s_sethalt 5
	s_branch .LBB6_2175
.LBB6_2176:
	s_trap 2
	s_sendmsg_rtn_b32 s0, sendmsg(MSG_RTN_GET_DOORBELL)
	s_mov_b32 ttmp2, m0
	s_waitcnt lgkmcnt(0)
	s_and_b32 s0, s0, 0x3ff
	s_delay_alu instid0(SALU_CYCLE_1) | instskip(NEXT) | instid1(SALU_CYCLE_1)
	s_bitset1_b32 s0, 10
	s_mov_b32 m0, s0
	s_sendmsg sendmsg(MSG_INTERRUPT)
	s_mov_b32 m0, ttmp2
.LBB6_2177:                             ; =>This Inner Loop Header: Depth=1
	s_sethalt 5
	s_branch .LBB6_2177
.LBB6_2178:
	s_trap 2
	s_sendmsg_rtn_b32 s0, sendmsg(MSG_RTN_GET_DOORBELL)
	s_mov_b32 ttmp2, m0
	s_waitcnt lgkmcnt(0)
	s_and_b32 s0, s0, 0x3ff
	s_delay_alu instid0(SALU_CYCLE_1) | instskip(NEXT) | instid1(SALU_CYCLE_1)
	s_bitset1_b32 s0, 10
	s_mov_b32 m0, s0
	s_sendmsg sendmsg(MSG_INTERRUPT)
	s_mov_b32 m0, ttmp2
.LBB6_2179:                             ; =>This Inner Loop Header: Depth=1
	s_sethalt 5
	s_branch .LBB6_2179
.LBB6_2180:
	s_trap 2
	s_sendmsg_rtn_b32 s0, sendmsg(MSG_RTN_GET_DOORBELL)
	s_mov_b32 ttmp2, m0
	s_waitcnt lgkmcnt(0)
	s_and_b32 s0, s0, 0x3ff
	s_delay_alu instid0(SALU_CYCLE_1) | instskip(NEXT) | instid1(SALU_CYCLE_1)
	s_bitset1_b32 s0, 10
	s_mov_b32 m0, s0
	s_sendmsg sendmsg(MSG_INTERRUPT)
	s_mov_b32 m0, ttmp2
.LBB6_2181:                             ; =>This Inner Loop Header: Depth=1
	s_sethalt 5
	s_branch .LBB6_2181
.LBB6_2182:
	s_trap 2
	s_sendmsg_rtn_b32 s0, sendmsg(MSG_RTN_GET_DOORBELL)
	s_mov_b32 ttmp2, m0
	s_waitcnt lgkmcnt(0)
	s_and_b32 s0, s0, 0x3ff
	s_delay_alu instid0(SALU_CYCLE_1) | instskip(NEXT) | instid1(SALU_CYCLE_1)
	s_bitset1_b32 s0, 10
	s_mov_b32 m0, s0
	s_sendmsg sendmsg(MSG_INTERRUPT)
	s_mov_b32 m0, ttmp2
.LBB6_2183:                             ; =>This Inner Loop Header: Depth=1
	s_sethalt 5
	s_branch .LBB6_2183
.LBB6_2184:
	s_trap 2
	s_sendmsg_rtn_b32 s0, sendmsg(MSG_RTN_GET_DOORBELL)
	s_mov_b32 ttmp2, m0
	s_waitcnt lgkmcnt(0)
	s_and_b32 s0, s0, 0x3ff
	s_delay_alu instid0(SALU_CYCLE_1) | instskip(NEXT) | instid1(SALU_CYCLE_1)
	s_bitset1_b32 s0, 10
	s_mov_b32 m0, s0
	s_sendmsg sendmsg(MSG_INTERRUPT)
	s_mov_b32 m0, ttmp2
.LBB6_2185:                             ; =>This Inner Loop Header: Depth=1
	s_sethalt 5
	s_branch .LBB6_2185
.LBB6_2186:
	s_trap 2
	s_sendmsg_rtn_b32 s0, sendmsg(MSG_RTN_GET_DOORBELL)
	s_mov_b32 ttmp2, m0
	s_waitcnt lgkmcnt(0)
	s_and_b32 s0, s0, 0x3ff
	s_delay_alu instid0(SALU_CYCLE_1) | instskip(NEXT) | instid1(SALU_CYCLE_1)
	s_bitset1_b32 s0, 10
	s_mov_b32 m0, s0
	s_sendmsg sendmsg(MSG_INTERRUPT)
	s_mov_b32 m0, ttmp2
.LBB6_2187:                             ; =>This Inner Loop Header: Depth=1
	s_sethalt 5
	s_branch .LBB6_2187
.LBB6_2188:
	s_trap 2
	s_sendmsg_rtn_b32 s0, sendmsg(MSG_RTN_GET_DOORBELL)
	s_mov_b32 ttmp2, m0
	s_waitcnt lgkmcnt(0)
	s_and_b32 s0, s0, 0x3ff
	s_delay_alu instid0(SALU_CYCLE_1) | instskip(NEXT) | instid1(SALU_CYCLE_1)
	s_bitset1_b32 s0, 10
	s_mov_b32 m0, s0
	s_sendmsg sendmsg(MSG_INTERRUPT)
	s_mov_b32 m0, ttmp2
.LBB6_2189:                             ; =>This Inner Loop Header: Depth=1
	s_sethalt 5
	s_branch .LBB6_2189
.LBB6_2190:
	s_trap 2
	s_sendmsg_rtn_b32 s0, sendmsg(MSG_RTN_GET_DOORBELL)
	s_mov_b32 ttmp2, m0
	s_waitcnt lgkmcnt(0)
	s_and_b32 s0, s0, 0x3ff
	s_delay_alu instid0(SALU_CYCLE_1) | instskip(NEXT) | instid1(SALU_CYCLE_1)
	s_bitset1_b32 s0, 10
	s_mov_b32 m0, s0
	s_sendmsg sendmsg(MSG_INTERRUPT)
	s_mov_b32 m0, ttmp2
.LBB6_2191:                             ; =>This Inner Loop Header: Depth=1
	s_sethalt 5
	s_branch .LBB6_2191
.LBB6_2192:
	s_trap 2
	s_sendmsg_rtn_b32 s0, sendmsg(MSG_RTN_GET_DOORBELL)
	s_mov_b32 ttmp2, m0
	s_waitcnt lgkmcnt(0)
	s_and_b32 s0, s0, 0x3ff
	s_delay_alu instid0(SALU_CYCLE_1) | instskip(NEXT) | instid1(SALU_CYCLE_1)
	s_bitset1_b32 s0, 10
	s_mov_b32 m0, s0
	s_sendmsg sendmsg(MSG_INTERRUPT)
	s_mov_b32 m0, ttmp2
.LBB6_2193:                             ; =>This Inner Loop Header: Depth=1
	s_sethalt 5
	s_branch .LBB6_2193
.LBB6_2194:
	s_trap 2
	s_sendmsg_rtn_b32 s0, sendmsg(MSG_RTN_GET_DOORBELL)
	s_mov_b32 ttmp2, m0
	s_waitcnt lgkmcnt(0)
	s_and_b32 s0, s0, 0x3ff
	s_delay_alu instid0(SALU_CYCLE_1) | instskip(NEXT) | instid1(SALU_CYCLE_1)
	s_bitset1_b32 s0, 10
	s_mov_b32 m0, s0
	s_sendmsg sendmsg(MSG_INTERRUPT)
	s_mov_b32 m0, ttmp2
.LBB6_2195:                             ; =>This Inner Loop Header: Depth=1
	s_sethalt 5
	s_branch .LBB6_2195
.LBB6_2196:
	s_trap 2
	s_sendmsg_rtn_b32 s0, sendmsg(MSG_RTN_GET_DOORBELL)
	s_mov_b32 ttmp2, m0
	s_waitcnt lgkmcnt(0)
	s_and_b32 s0, s0, 0x3ff
	s_delay_alu instid0(SALU_CYCLE_1) | instskip(NEXT) | instid1(SALU_CYCLE_1)
	s_bitset1_b32 s0, 10
	s_mov_b32 m0, s0
	s_sendmsg sendmsg(MSG_INTERRUPT)
	s_mov_b32 m0, ttmp2
.LBB6_2197:                             ; =>This Inner Loop Header: Depth=1
	s_sethalt 5
	s_branch .LBB6_2197
.LBB6_2198:
	s_trap 2
	s_sendmsg_rtn_b32 s0, sendmsg(MSG_RTN_GET_DOORBELL)
	s_mov_b32 ttmp2, m0
	s_waitcnt lgkmcnt(0)
	s_and_b32 s0, s0, 0x3ff
	s_delay_alu instid0(SALU_CYCLE_1) | instskip(NEXT) | instid1(SALU_CYCLE_1)
	s_bitset1_b32 s0, 10
	s_mov_b32 m0, s0
	s_sendmsg sendmsg(MSG_INTERRUPT)
	s_mov_b32 m0, ttmp2
.LBB6_2199:                             ; =>This Inner Loop Header: Depth=1
	s_sethalt 5
	s_branch .LBB6_2199
.LBB6_2200:
	s_trap 2
	s_sendmsg_rtn_b32 s0, sendmsg(MSG_RTN_GET_DOORBELL)
	s_mov_b32 ttmp2, m0
	s_waitcnt lgkmcnt(0)
	s_and_b32 s0, s0, 0x3ff
	s_delay_alu instid0(SALU_CYCLE_1) | instskip(NEXT) | instid1(SALU_CYCLE_1)
	s_bitset1_b32 s0, 10
	s_mov_b32 m0, s0
	s_sendmsg sendmsg(MSG_INTERRUPT)
	s_mov_b32 m0, ttmp2
.LBB6_2201:                             ; =>This Inner Loop Header: Depth=1
	s_sethalt 5
	s_branch .LBB6_2201
.LBB6_2202:
	s_trap 2
	s_sendmsg_rtn_b32 s0, sendmsg(MSG_RTN_GET_DOORBELL)
	s_mov_b32 ttmp2, m0
	s_waitcnt lgkmcnt(0)
	s_and_b32 s0, s0, 0x3ff
	s_delay_alu instid0(SALU_CYCLE_1) | instskip(NEXT) | instid1(SALU_CYCLE_1)
	s_bitset1_b32 s0, 10
	s_mov_b32 m0, s0
	s_sendmsg sendmsg(MSG_INTERRUPT)
	s_mov_b32 m0, ttmp2
.LBB6_2203:                             ; =>This Inner Loop Header: Depth=1
	s_sethalt 5
	s_branch .LBB6_2203
.LBB6_2204:
	s_trap 2
	s_sendmsg_rtn_b32 s0, sendmsg(MSG_RTN_GET_DOORBELL)
	s_mov_b32 ttmp2, m0
	s_waitcnt lgkmcnt(0)
	s_and_b32 s0, s0, 0x3ff
	s_delay_alu instid0(SALU_CYCLE_1) | instskip(NEXT) | instid1(SALU_CYCLE_1)
	s_bitset1_b32 s0, 10
	s_mov_b32 m0, s0
	s_sendmsg sendmsg(MSG_INTERRUPT)
	s_mov_b32 m0, ttmp2
.LBB6_2205:                             ; =>This Inner Loop Header: Depth=1
	s_sethalt 5
	s_branch .LBB6_2205
.LBB6_2206:
	s_trap 2
	s_sendmsg_rtn_b32 s0, sendmsg(MSG_RTN_GET_DOORBELL)
	s_mov_b32 ttmp2, m0
	s_waitcnt lgkmcnt(0)
	s_and_b32 s0, s0, 0x3ff
	s_delay_alu instid0(SALU_CYCLE_1) | instskip(NEXT) | instid1(SALU_CYCLE_1)
	s_bitset1_b32 s0, 10
	s_mov_b32 m0, s0
	s_sendmsg sendmsg(MSG_INTERRUPT)
	s_mov_b32 m0, ttmp2
.LBB6_2207:                             ; =>This Inner Loop Header: Depth=1
	s_sethalt 5
	s_branch .LBB6_2207
.LBB6_2208:
	s_trap 2
	s_sendmsg_rtn_b32 s0, sendmsg(MSG_RTN_GET_DOORBELL)
	s_mov_b32 ttmp2, m0
	s_waitcnt lgkmcnt(0)
	s_and_b32 s0, s0, 0x3ff
	s_delay_alu instid0(SALU_CYCLE_1) | instskip(NEXT) | instid1(SALU_CYCLE_1)
	s_bitset1_b32 s0, 10
	s_mov_b32 m0, s0
	s_sendmsg sendmsg(MSG_INTERRUPT)
	s_mov_b32 m0, ttmp2
.LBB6_2209:                             ; =>This Inner Loop Header: Depth=1
	s_sethalt 5
	s_branch .LBB6_2209
.LBB6_2210:
	s_trap 2
	s_sendmsg_rtn_b32 s0, sendmsg(MSG_RTN_GET_DOORBELL)
	s_mov_b32 ttmp2, m0
	s_waitcnt lgkmcnt(0)
	s_and_b32 s0, s0, 0x3ff
	s_delay_alu instid0(SALU_CYCLE_1) | instskip(NEXT) | instid1(SALU_CYCLE_1)
	s_bitset1_b32 s0, 10
	s_mov_b32 m0, s0
	s_sendmsg sendmsg(MSG_INTERRUPT)
	s_mov_b32 m0, ttmp2
.LBB6_2211:                             ; =>This Inner Loop Header: Depth=1
	s_sethalt 5
	s_branch .LBB6_2211
.LBB6_2212:
	s_trap 2
	s_sendmsg_rtn_b32 s0, sendmsg(MSG_RTN_GET_DOORBELL)
	s_mov_b32 ttmp2, m0
	s_waitcnt lgkmcnt(0)
	s_and_b32 s0, s0, 0x3ff
	s_delay_alu instid0(SALU_CYCLE_1) | instskip(NEXT) | instid1(SALU_CYCLE_1)
	s_bitset1_b32 s0, 10
	s_mov_b32 m0, s0
	s_sendmsg sendmsg(MSG_INTERRUPT)
	s_mov_b32 m0, ttmp2
.LBB6_2213:                             ; =>This Inner Loop Header: Depth=1
	s_sethalt 5
	s_branch .LBB6_2213
.LBB6_2214:
	s_trap 2
	s_sendmsg_rtn_b32 s0, sendmsg(MSG_RTN_GET_DOORBELL)
	s_mov_b32 ttmp2, m0
	s_waitcnt lgkmcnt(0)
	s_and_b32 s0, s0, 0x3ff
	s_delay_alu instid0(SALU_CYCLE_1) | instskip(NEXT) | instid1(SALU_CYCLE_1)
	s_bitset1_b32 s0, 10
	s_mov_b32 m0, s0
	s_sendmsg sendmsg(MSG_INTERRUPT)
	s_mov_b32 m0, ttmp2
.LBB6_2215:                             ; =>This Inner Loop Header: Depth=1
	s_sethalt 5
	s_branch .LBB6_2215
.LBB6_2216:
	s_trap 2
	s_sendmsg_rtn_b32 s0, sendmsg(MSG_RTN_GET_DOORBELL)
	s_mov_b32 ttmp2, m0
	s_waitcnt lgkmcnt(0)
	s_and_b32 s0, s0, 0x3ff
	s_delay_alu instid0(SALU_CYCLE_1) | instskip(NEXT) | instid1(SALU_CYCLE_1)
	s_bitset1_b32 s0, 10
	s_mov_b32 m0, s0
	s_sendmsg sendmsg(MSG_INTERRUPT)
	s_mov_b32 m0, ttmp2
.LBB6_2217:                             ; =>This Inner Loop Header: Depth=1
	s_sethalt 5
	s_branch .LBB6_2217
.LBB6_2218:
	s_trap 2
	s_sendmsg_rtn_b32 s0, sendmsg(MSG_RTN_GET_DOORBELL)
	s_mov_b32 ttmp2, m0
	s_waitcnt lgkmcnt(0)
	s_and_b32 s0, s0, 0x3ff
	s_delay_alu instid0(SALU_CYCLE_1) | instskip(NEXT) | instid1(SALU_CYCLE_1)
	s_bitset1_b32 s0, 10
	s_mov_b32 m0, s0
	s_sendmsg sendmsg(MSG_INTERRUPT)
	s_mov_b32 m0, ttmp2
.LBB6_2219:                             ; =>This Inner Loop Header: Depth=1
	s_sethalt 5
	s_branch .LBB6_2219
.LBB6_2220:
	s_trap 2
	s_sendmsg_rtn_b32 s0, sendmsg(MSG_RTN_GET_DOORBELL)
	s_mov_b32 ttmp2, m0
	s_waitcnt lgkmcnt(0)
	s_and_b32 s0, s0, 0x3ff
	s_delay_alu instid0(SALU_CYCLE_1) | instskip(NEXT) | instid1(SALU_CYCLE_1)
	s_bitset1_b32 s0, 10
	s_mov_b32 m0, s0
	s_sendmsg sendmsg(MSG_INTERRUPT)
	s_mov_b32 m0, ttmp2
.LBB6_2221:                             ; =>This Inner Loop Header: Depth=1
	s_sethalt 5
	s_branch .LBB6_2221
.LBB6_2222:
	s_trap 2
	s_sendmsg_rtn_b32 s0, sendmsg(MSG_RTN_GET_DOORBELL)
	s_mov_b32 ttmp2, m0
	s_waitcnt lgkmcnt(0)
	s_and_b32 s0, s0, 0x3ff
	s_delay_alu instid0(SALU_CYCLE_1) | instskip(NEXT) | instid1(SALU_CYCLE_1)
	s_bitset1_b32 s0, 10
	s_mov_b32 m0, s0
	s_sendmsg sendmsg(MSG_INTERRUPT)
	s_mov_b32 m0, ttmp2
.LBB6_2223:                             ; =>This Inner Loop Header: Depth=1
	s_sethalt 5
	s_branch .LBB6_2223
.LBB6_2224:
	s_trap 2
	s_sendmsg_rtn_b32 s0, sendmsg(MSG_RTN_GET_DOORBELL)
	s_mov_b32 ttmp2, m0
	s_waitcnt lgkmcnt(0)
	s_and_b32 s0, s0, 0x3ff
	s_delay_alu instid0(SALU_CYCLE_1) | instskip(NEXT) | instid1(SALU_CYCLE_1)
	s_bitset1_b32 s0, 10
	s_mov_b32 m0, s0
	s_sendmsg sendmsg(MSG_INTERRUPT)
	s_mov_b32 m0, ttmp2
.LBB6_2225:                             ; =>This Inner Loop Header: Depth=1
	s_sethalt 5
	s_branch .LBB6_2225
.LBB6_2226:
	s_trap 2
	s_sendmsg_rtn_b32 s0, sendmsg(MSG_RTN_GET_DOORBELL)
	s_mov_b32 ttmp2, m0
	s_waitcnt lgkmcnt(0)
	s_and_b32 s0, s0, 0x3ff
	s_delay_alu instid0(SALU_CYCLE_1) | instskip(NEXT) | instid1(SALU_CYCLE_1)
	s_bitset1_b32 s0, 10
	s_mov_b32 m0, s0
	s_sendmsg sendmsg(MSG_INTERRUPT)
	s_mov_b32 m0, ttmp2
.LBB6_2227:                             ; =>This Inner Loop Header: Depth=1
	s_sethalt 5
	s_branch .LBB6_2227
.LBB6_2228:
	s_trap 2
	s_sendmsg_rtn_b32 s0, sendmsg(MSG_RTN_GET_DOORBELL)
	s_mov_b32 ttmp2, m0
	s_waitcnt lgkmcnt(0)
	s_and_b32 s0, s0, 0x3ff
	s_delay_alu instid0(SALU_CYCLE_1) | instskip(NEXT) | instid1(SALU_CYCLE_1)
	s_bitset1_b32 s0, 10
	s_mov_b32 m0, s0
	s_sendmsg sendmsg(MSG_INTERRUPT)
	s_mov_b32 m0, ttmp2
.LBB6_2229:                             ; =>This Inner Loop Header: Depth=1
	s_sethalt 5
	s_branch .LBB6_2229
.LBB6_2230:
	s_trap 2
	s_sendmsg_rtn_b32 s0, sendmsg(MSG_RTN_GET_DOORBELL)
	s_mov_b32 ttmp2, m0
	s_waitcnt lgkmcnt(0)
	s_and_b32 s0, s0, 0x3ff
	s_delay_alu instid0(SALU_CYCLE_1) | instskip(NEXT) | instid1(SALU_CYCLE_1)
	s_bitset1_b32 s0, 10
	s_mov_b32 m0, s0
	s_sendmsg sendmsg(MSG_INTERRUPT)
	s_mov_b32 m0, ttmp2
.LBB6_2231:                             ; =>This Inner Loop Header: Depth=1
	s_sethalt 5
	s_branch .LBB6_2231
.LBB6_2232:
	s_or_b32 exec_lo, exec_lo, s4
	s_and_saveexec_b32 s4, s5
	s_delay_alu instid0(SALU_CYCLE_1)
	s_xor_b32 s4, exec_lo, s4
	s_cbranch_execz .LBB6_2234
; %bb.2233:
	v_mov_b32_e32 v0, 1
	ds_store_b32 v0, v0
	s_cbranch_execnz .LBB6_2280
.LBB6_2234:
	s_or_b32 exec_lo, exec_lo, s3
	;;#ASMSTART
	s_wakeup
	;;#ASMEND
.LBB6_2235:
	s_or_b32 exec_lo, exec_lo, s2
.LBB6_2236:
	s_and_not1_saveexec_b32 s1, s1
	s_cbranch_execz .LBB6_2238
; %bb.2237:
	s_waitcnt lgkmcnt(0)
	s_waitcnt_vscnt null, 0x0
	buffer_gl1_inv
	buffer_gl0_inv
	s_barrier
.LBB6_2238:
	s_or_b32 exec_lo, exec_lo, s0
.LBB6_2239:
	s_and_not1_saveexec_b32 s21, s15
	s_cbranch_execz .LBB6_2241
; %bb.2240:
	s_getpc_b64 s[0:1]
	s_add_u32 s0, s0, __PRETTY_FUNCTION__._ZN10PrimitivesI6__half10FuncMinMaxIS0_E12FanSymmetricILi1EELi0E11ProtoSimpleILi1ELi1ELi0ELi4ELi0ELi0EELi0ELb0ELi0ELi0ELi0EEC2EiiPKiS9_PKvPvmhhhP15ncclDevWorkCollP14ncclDevWorkP2pii@rel32@lo+4
	s_addc_u32 s1, s1, __PRETTY_FUNCTION__._ZN10PrimitivesI6__half10FuncMinMaxIS0_E12FanSymmetricILi1EELi0E11ProtoSimpleILi1ELi1ELi0ELi4ELi0ELi0EELi0ELb0ELi0ELi0ELi0EEC2EiiPKiS9_PKvPvmhhhP15ncclDevWorkCollP14ncclDevWorkP2pii@rel32@hi+12
	s_delay_alu instid0(SALU_CYCLE_1) | instskip(SKIP_3) | instid1(SALU_CYCLE_1)
	v_dual_mov_b32 v0, s0 :: v_dual_mov_b32 v1, s1
	s_getpc_b64 s[2:3]
	s_add_u32 s2, s2, __assert_fail@rel32@lo+4
	s_addc_u32 s3, s3, __assert_fail@rel32@hi+12
	s_swappc_b64 s[30:31], s[2:3]
	; divergent unreachable
.LBB6_2241:
	s_or_b32 exec_lo, exec_lo, s21
	scratch_load_b32 v40, off, s33          ; 4-byte Folded Reload
	v_readlane_b32 s30, v41, 0
	v_readlane_b32 s31, v41, 1
	v_readlane_b32 s0, v41, 2
	s_or_saveexec_b32 s1, -1
	scratch_load_b32 v41, off, s33 offset:4 ; 4-byte Folded Reload
	s_mov_b32 exec_lo, s1
	s_add_i32 s32, s32, -16
	s_mov_b32 s33, s0
	s_waitcnt vmcnt(0) lgkmcnt(0)
	s_setpc_b64 s[30:31]
.LBB6_2242:
	s_trap 2
	s_sendmsg_rtn_b32 s0, sendmsg(MSG_RTN_GET_DOORBELL)
	s_mov_b32 ttmp2, m0
	s_waitcnt lgkmcnt(0)
	s_and_b32 s0, s0, 0x3ff
	s_delay_alu instid0(SALU_CYCLE_1) | instskip(NEXT) | instid1(SALU_CYCLE_1)
	s_bitset1_b32 s0, 10
	s_mov_b32 m0, s0
	s_sendmsg sendmsg(MSG_INTERRUPT)
	s_mov_b32 m0, ttmp2
.LBB6_2243:                             ; =>This Inner Loop Header: Depth=1
	s_sethalt 5
	s_branch .LBB6_2243
.LBB6_2244:
	s_trap 2
	s_sendmsg_rtn_b32 s0, sendmsg(MSG_RTN_GET_DOORBELL)
	s_mov_b32 ttmp2, m0
	s_waitcnt lgkmcnt(0)
	s_and_b32 s0, s0, 0x3ff
	s_delay_alu instid0(SALU_CYCLE_1) | instskip(NEXT) | instid1(SALU_CYCLE_1)
	s_bitset1_b32 s0, 10
	s_mov_b32 m0, s0
	s_sendmsg sendmsg(MSG_INTERRUPT)
	s_mov_b32 m0, ttmp2
.LBB6_2245:                             ; =>This Inner Loop Header: Depth=1
	s_sethalt 5
	s_branch .LBB6_2245
.LBB6_2246:
	s_trap 2
	s_sendmsg_rtn_b32 s0, sendmsg(MSG_RTN_GET_DOORBELL)
	s_mov_b32 ttmp2, m0
	s_waitcnt lgkmcnt(0)
	s_and_b32 s0, s0, 0x3ff
	s_delay_alu instid0(SALU_CYCLE_1) | instskip(NEXT) | instid1(SALU_CYCLE_1)
	s_bitset1_b32 s0, 10
	s_mov_b32 m0, s0
	s_sendmsg sendmsg(MSG_INTERRUPT)
	s_mov_b32 m0, ttmp2
.LBB6_2247:                             ; =>This Inner Loop Header: Depth=1
	s_sethalt 5
	s_branch .LBB6_2247
.LBB6_2248:
	s_trap 2
	s_sendmsg_rtn_b32 s0, sendmsg(MSG_RTN_GET_DOORBELL)
	s_mov_b32 ttmp2, m0
	s_waitcnt lgkmcnt(0)
	s_and_b32 s0, s0, 0x3ff
	s_delay_alu instid0(SALU_CYCLE_1) | instskip(NEXT) | instid1(SALU_CYCLE_1)
	s_bitset1_b32 s0, 10
	s_mov_b32 m0, s0
	s_sendmsg sendmsg(MSG_INTERRUPT)
	s_mov_b32 m0, ttmp2
.LBB6_2249:                             ; =>This Inner Loop Header: Depth=1
	s_sethalt 5
	s_branch .LBB6_2249
.LBB6_2250:
	s_trap 2
	s_sendmsg_rtn_b32 s0, sendmsg(MSG_RTN_GET_DOORBELL)
	s_mov_b32 ttmp2, m0
	s_waitcnt lgkmcnt(0)
	s_and_b32 s0, s0, 0x3ff
	s_delay_alu instid0(SALU_CYCLE_1) | instskip(NEXT) | instid1(SALU_CYCLE_1)
	s_bitset1_b32 s0, 10
	s_mov_b32 m0, s0
	s_sendmsg sendmsg(MSG_INTERRUPT)
	s_mov_b32 m0, ttmp2
.LBB6_2251:                             ; =>This Inner Loop Header: Depth=1
	s_sethalt 5
	s_branch .LBB6_2251
.LBB6_2252:
	s_trap 2
	s_sendmsg_rtn_b32 s0, sendmsg(MSG_RTN_GET_DOORBELL)
	s_mov_b32 ttmp2, m0
	s_waitcnt lgkmcnt(0)
	s_and_b32 s0, s0, 0x3ff
	s_delay_alu instid0(SALU_CYCLE_1) | instskip(NEXT) | instid1(SALU_CYCLE_1)
	s_bitset1_b32 s0, 10
	s_mov_b32 m0, s0
	s_sendmsg sendmsg(MSG_INTERRUPT)
	s_mov_b32 m0, ttmp2
.LBB6_2253:                             ; =>This Inner Loop Header: Depth=1
	s_sethalt 5
	s_branch .LBB6_2253
.LBB6_2254:
	s_trap 2
	s_sendmsg_rtn_b32 s0, sendmsg(MSG_RTN_GET_DOORBELL)
	s_mov_b32 ttmp2, m0
	s_waitcnt lgkmcnt(0)
	s_and_b32 s0, s0, 0x3ff
	s_delay_alu instid0(SALU_CYCLE_1) | instskip(NEXT) | instid1(SALU_CYCLE_1)
	s_bitset1_b32 s0, 10
	s_mov_b32 m0, s0
	s_sendmsg sendmsg(MSG_INTERRUPT)
	s_mov_b32 m0, ttmp2
.LBB6_2255:                             ; =>This Inner Loop Header: Depth=1
	s_sethalt 5
	s_branch .LBB6_2255
.LBB6_2256:
	s_trap 2
	s_sendmsg_rtn_b32 s0, sendmsg(MSG_RTN_GET_DOORBELL)
	s_mov_b32 ttmp2, m0
	s_waitcnt lgkmcnt(0)
	s_and_b32 s0, s0, 0x3ff
	s_delay_alu instid0(SALU_CYCLE_1) | instskip(NEXT) | instid1(SALU_CYCLE_1)
	s_bitset1_b32 s0, 10
	s_mov_b32 m0, s0
	s_sendmsg sendmsg(MSG_INTERRUPT)
	s_mov_b32 m0, ttmp2
.LBB6_2257:                             ; =>This Inner Loop Header: Depth=1
	s_sethalt 5
	s_branch .LBB6_2257
.LBB6_2258:
	s_trap 2
	s_sendmsg_rtn_b32 s0, sendmsg(MSG_RTN_GET_DOORBELL)
	s_mov_b32 ttmp2, m0
	s_waitcnt lgkmcnt(0)
	s_and_b32 s0, s0, 0x3ff
	s_delay_alu instid0(SALU_CYCLE_1) | instskip(NEXT) | instid1(SALU_CYCLE_1)
	s_bitset1_b32 s0, 10
	s_mov_b32 m0, s0
	s_sendmsg sendmsg(MSG_INTERRUPT)
	s_mov_b32 m0, ttmp2
.LBB6_2259:                             ; =>This Inner Loop Header: Depth=1
	s_sethalt 5
	s_branch .LBB6_2259
.LBB6_2260:
	s_trap 2
	s_sendmsg_rtn_b32 s0, sendmsg(MSG_RTN_GET_DOORBELL)
	s_mov_b32 ttmp2, m0
	s_waitcnt lgkmcnt(0)
	s_and_b32 s0, s0, 0x3ff
	s_delay_alu instid0(SALU_CYCLE_1) | instskip(NEXT) | instid1(SALU_CYCLE_1)
	s_bitset1_b32 s0, 10
	s_mov_b32 m0, s0
	s_sendmsg sendmsg(MSG_INTERRUPT)
	s_mov_b32 m0, ttmp2
.LBB6_2261:                             ; =>This Inner Loop Header: Depth=1
	s_sethalt 5
	s_branch .LBB6_2261
.LBB6_2262:
	s_trap 2
	s_sendmsg_rtn_b32 s0, sendmsg(MSG_RTN_GET_DOORBELL)
	s_mov_b32 ttmp2, m0
	s_waitcnt lgkmcnt(0)
	s_and_b32 s0, s0, 0x3ff
	s_delay_alu instid0(SALU_CYCLE_1) | instskip(NEXT) | instid1(SALU_CYCLE_1)
	s_bitset1_b32 s0, 10
	s_mov_b32 m0, s0
	s_sendmsg sendmsg(MSG_INTERRUPT)
	s_mov_b32 m0, ttmp2
.LBB6_2263:                             ; =>This Inner Loop Header: Depth=1
	s_sethalt 5
	s_branch .LBB6_2263
.LBB6_2264:
	s_trap 2
	s_sendmsg_rtn_b32 s0, sendmsg(MSG_RTN_GET_DOORBELL)
	s_mov_b32 ttmp2, m0
	s_waitcnt lgkmcnt(0)
	s_and_b32 s0, s0, 0x3ff
	s_delay_alu instid0(SALU_CYCLE_1) | instskip(NEXT) | instid1(SALU_CYCLE_1)
	s_bitset1_b32 s0, 10
	s_mov_b32 m0, s0
	s_sendmsg sendmsg(MSG_INTERRUPT)
	s_mov_b32 m0, ttmp2
.LBB6_2265:                             ; =>This Inner Loop Header: Depth=1
	s_sethalt 5
	s_branch .LBB6_2265
.LBB6_2266:
	s_trap 2
	s_sendmsg_rtn_b32 s0, sendmsg(MSG_RTN_GET_DOORBELL)
	s_mov_b32 ttmp2, m0
	s_waitcnt lgkmcnt(0)
	s_and_b32 s0, s0, 0x3ff
	s_delay_alu instid0(SALU_CYCLE_1) | instskip(NEXT) | instid1(SALU_CYCLE_1)
	s_bitset1_b32 s0, 10
	s_mov_b32 m0, s0
	s_sendmsg sendmsg(MSG_INTERRUPT)
	s_mov_b32 m0, ttmp2
.LBB6_2267:                             ; =>This Inner Loop Header: Depth=1
	s_sethalt 5
	s_branch .LBB6_2267
.LBB6_2268:
	s_trap 2
	s_sendmsg_rtn_b32 s0, sendmsg(MSG_RTN_GET_DOORBELL)
	s_mov_b32 ttmp2, m0
	s_waitcnt lgkmcnt(0)
	s_and_b32 s0, s0, 0x3ff
	s_delay_alu instid0(SALU_CYCLE_1) | instskip(NEXT) | instid1(SALU_CYCLE_1)
	s_bitset1_b32 s0, 10
	s_mov_b32 m0, s0
	s_sendmsg sendmsg(MSG_INTERRUPT)
	s_mov_b32 m0, ttmp2
.LBB6_2269:                             ; =>This Inner Loop Header: Depth=1
	s_sethalt 5
	s_branch .LBB6_2269
.LBB6_2270:
	s_trap 2
	s_sendmsg_rtn_b32 s0, sendmsg(MSG_RTN_GET_DOORBELL)
	s_mov_b32 ttmp2, m0
	s_waitcnt lgkmcnt(0)
	s_and_b32 s0, s0, 0x3ff
	s_delay_alu instid0(SALU_CYCLE_1) | instskip(NEXT) | instid1(SALU_CYCLE_1)
	s_bitset1_b32 s0, 10
	s_mov_b32 m0, s0
	s_sendmsg sendmsg(MSG_INTERRUPT)
	s_mov_b32 m0, ttmp2
.LBB6_2271:                             ; =>This Inner Loop Header: Depth=1
	s_sethalt 5
	s_branch .LBB6_2271
.LBB6_2272:
	s_trap 2
	s_sendmsg_rtn_b32 s0, sendmsg(MSG_RTN_GET_DOORBELL)
	s_mov_b32 ttmp2, m0
	s_waitcnt lgkmcnt(0)
	s_and_b32 s0, s0, 0x3ff
	s_delay_alu instid0(SALU_CYCLE_1) | instskip(NEXT) | instid1(SALU_CYCLE_1)
	s_bitset1_b32 s0, 10
	s_mov_b32 m0, s0
	s_sendmsg sendmsg(MSG_INTERRUPT)
	s_mov_b32 m0, ttmp2
.LBB6_2273:                             ; =>This Inner Loop Header: Depth=1
	s_sethalt 5
	s_branch .LBB6_2273
.LBB6_2274:
	s_trap 2
	s_sendmsg_rtn_b32 s0, sendmsg(MSG_RTN_GET_DOORBELL)
	s_mov_b32 ttmp2, m0
	s_waitcnt lgkmcnt(0)
	s_and_b32 s0, s0, 0x3ff
	s_delay_alu instid0(SALU_CYCLE_1) | instskip(NEXT) | instid1(SALU_CYCLE_1)
	s_bitset1_b32 s0, 10
	s_mov_b32 m0, s0
	s_sendmsg sendmsg(MSG_INTERRUPT)
	s_mov_b32 m0, ttmp2
.LBB6_2275:                             ; =>This Inner Loop Header: Depth=1
	s_sethalt 5
	s_branch .LBB6_2275
.LBB6_2276:
	s_trap 2
	s_sendmsg_rtn_b32 s0, sendmsg(MSG_RTN_GET_DOORBELL)
	s_mov_b32 ttmp2, m0
	s_waitcnt lgkmcnt(0)
	s_and_b32 s0, s0, 0x3ff
	s_delay_alu instid0(SALU_CYCLE_1) | instskip(NEXT) | instid1(SALU_CYCLE_1)
	s_bitset1_b32 s0, 10
	s_mov_b32 m0, s0
	s_sendmsg sendmsg(MSG_INTERRUPT)
	s_mov_b32 m0, ttmp2
.LBB6_2277:                             ; =>This Inner Loop Header: Depth=1
	s_sethalt 5
	s_branch .LBB6_2277
.LBB6_2278:
	s_trap 2
	s_sendmsg_rtn_b32 s0, sendmsg(MSG_RTN_GET_DOORBELL)
	s_mov_b32 ttmp2, m0
	s_waitcnt lgkmcnt(0)
	s_and_b32 s0, s0, 0x3ff
	s_delay_alu instid0(SALU_CYCLE_1) | instskip(NEXT) | instid1(SALU_CYCLE_1)
	s_bitset1_b32 s0, 10
	s_mov_b32 m0, s0
	s_sendmsg sendmsg(MSG_INTERRUPT)
	s_mov_b32 m0, ttmp2
.LBB6_2279:                             ; =>This Inner Loop Header: Depth=1
	s_sethalt 5
	s_branch .LBB6_2279
.LBB6_2280:
	s_trap 2
	s_sendmsg_rtn_b32 s0, sendmsg(MSG_RTN_GET_DOORBELL)
	s_mov_b32 ttmp2, m0
	s_waitcnt lgkmcnt(0)
	s_and_b32 s0, s0, 0x3ff
	s_delay_alu instid0(SALU_CYCLE_1) | instskip(NEXT) | instid1(SALU_CYCLE_1)
	s_bitset1_b32 s0, 10
	s_mov_b32 m0, s0
	s_sendmsg sendmsg(MSG_INTERRUPT)
	s_mov_b32 m0, ttmp2
.LBB6_2281:                             ; =>This Inner Loop Header: Depth=1
	s_sethalt 5
	s_branch .LBB6_2281
.LBB6_2282:
	s_trap 2
	s_sendmsg_rtn_b32 s0, sendmsg(MSG_RTN_GET_DOORBELL)
	s_mov_b32 ttmp2, m0
	s_waitcnt lgkmcnt(0)
	s_and_b32 s0, s0, 0x3ff
	s_delay_alu instid0(SALU_CYCLE_1) | instskip(NEXT) | instid1(SALU_CYCLE_1)
	s_bitset1_b32 s0, 10
	s_mov_b32 m0, s0
	s_sendmsg sendmsg(MSG_INTERRUPT)
	s_mov_b32 m0, ttmp2
.LBB6_2283:                             ; =>This Inner Loop Header: Depth=1
	s_sethalt 5
	s_branch .LBB6_2283
.LBB6_2284:
	s_trap 2
	s_sendmsg_rtn_b32 s0, sendmsg(MSG_RTN_GET_DOORBELL)
	s_mov_b32 ttmp2, m0
	s_waitcnt lgkmcnt(0)
	s_and_b32 s0, s0, 0x3ff
	s_delay_alu instid0(SALU_CYCLE_1) | instskip(NEXT) | instid1(SALU_CYCLE_1)
	s_bitset1_b32 s0, 10
	s_mov_b32 m0, s0
	s_sendmsg sendmsg(MSG_INTERRUPT)
	s_mov_b32 m0, ttmp2
.LBB6_2285:                             ; =>This Inner Loop Header: Depth=1
	s_sethalt 5
	s_branch .LBB6_2285
.LBB6_2286:
	s_trap 2
	s_sendmsg_rtn_b32 s0, sendmsg(MSG_RTN_GET_DOORBELL)
	s_mov_b32 ttmp2, m0
	s_waitcnt lgkmcnt(0)
	s_and_b32 s0, s0, 0x3ff
	s_delay_alu instid0(SALU_CYCLE_1) | instskip(NEXT) | instid1(SALU_CYCLE_1)
	s_bitset1_b32 s0, 10
	s_mov_b32 m0, s0
	s_sendmsg sendmsg(MSG_INTERRUPT)
	s_mov_b32 m0, ttmp2
.LBB6_2287:                             ; =>This Inner Loop Header: Depth=1
	s_sethalt 5
	s_branch .LBB6_2287
.LBB6_2288:
	s_trap 2
	s_sendmsg_rtn_b32 s0, sendmsg(MSG_RTN_GET_DOORBELL)
	s_mov_b32 ttmp2, m0
	s_waitcnt lgkmcnt(0)
	s_and_b32 s0, s0, 0x3ff
	s_delay_alu instid0(SALU_CYCLE_1) | instskip(NEXT) | instid1(SALU_CYCLE_1)
	s_bitset1_b32 s0, 10
	s_mov_b32 m0, s0
	s_sendmsg sendmsg(MSG_INTERRUPT)
	s_mov_b32 m0, ttmp2
.LBB6_2289:                             ; =>This Inner Loop Header: Depth=1
	s_sethalt 5
	s_branch .LBB6_2289
.LBB6_2290:
	s_trap 2
	s_sendmsg_rtn_b32 s0, sendmsg(MSG_RTN_GET_DOORBELL)
	s_mov_b32 ttmp2, m0
	s_waitcnt lgkmcnt(0)
	s_and_b32 s0, s0, 0x3ff
	s_delay_alu instid0(SALU_CYCLE_1) | instskip(NEXT) | instid1(SALU_CYCLE_1)
	s_bitset1_b32 s0, 10
	s_mov_b32 m0, s0
	s_sendmsg sendmsg(MSG_INTERRUPT)
	s_mov_b32 m0, ttmp2
.LBB6_2291:                             ; =>This Inner Loop Header: Depth=1
	s_sethalt 5
	s_branch .LBB6_2291
.LBB6_2292:
	s_trap 2
	s_sendmsg_rtn_b32 s0, sendmsg(MSG_RTN_GET_DOORBELL)
	s_mov_b32 ttmp2, m0
	s_waitcnt lgkmcnt(0)
	s_and_b32 s0, s0, 0x3ff
	s_delay_alu instid0(SALU_CYCLE_1) | instskip(NEXT) | instid1(SALU_CYCLE_1)
	s_bitset1_b32 s0, 10
	s_mov_b32 m0, s0
	s_sendmsg sendmsg(MSG_INTERRUPT)
	s_mov_b32 m0, ttmp2
.LBB6_2293:                             ; =>This Inner Loop Header: Depth=1
	s_sethalt 5
	s_branch .LBB6_2293
.LBB6_2294:
	s_trap 2
	s_sendmsg_rtn_b32 s0, sendmsg(MSG_RTN_GET_DOORBELL)
	s_mov_b32 ttmp2, m0
	s_waitcnt lgkmcnt(0)
	s_and_b32 s0, s0, 0x3ff
	s_delay_alu instid0(SALU_CYCLE_1) | instskip(NEXT) | instid1(SALU_CYCLE_1)
	s_bitset1_b32 s0, 10
	s_mov_b32 m0, s0
	s_sendmsg sendmsg(MSG_INTERRUPT)
	s_mov_b32 m0, ttmp2
.LBB6_2295:                             ; =>This Inner Loop Header: Depth=1
	s_sethalt 5
	s_branch .LBB6_2295
.LBB6_2296:
	s_trap 2
	s_sendmsg_rtn_b32 s0, sendmsg(MSG_RTN_GET_DOORBELL)
	s_mov_b32 ttmp2, m0
	s_waitcnt lgkmcnt(0)
	s_and_b32 s0, s0, 0x3ff
	s_delay_alu instid0(SALU_CYCLE_1) | instskip(NEXT) | instid1(SALU_CYCLE_1)
	s_bitset1_b32 s0, 10
	s_mov_b32 m0, s0
	s_sendmsg sendmsg(MSG_INTERRUPT)
	s_mov_b32 m0, ttmp2
.LBB6_2297:                             ; =>This Inner Loop Header: Depth=1
	s_sethalt 5
	s_branch .LBB6_2297
.LBB6_2298:
	s_trap 2
	s_sendmsg_rtn_b32 s0, sendmsg(MSG_RTN_GET_DOORBELL)
	s_mov_b32 ttmp2, m0
	s_waitcnt lgkmcnt(0)
	s_and_b32 s0, s0, 0x3ff
	s_delay_alu instid0(SALU_CYCLE_1) | instskip(NEXT) | instid1(SALU_CYCLE_1)
	s_bitset1_b32 s0, 10
	s_mov_b32 m0, s0
	s_sendmsg sendmsg(MSG_INTERRUPT)
	s_mov_b32 m0, ttmp2
.LBB6_2299:                             ; =>This Inner Loop Header: Depth=1
	s_sethalt 5
	s_branch .LBB6_2299
.LBB6_2300:
	s_trap 2
	s_sendmsg_rtn_b32 s0, sendmsg(MSG_RTN_GET_DOORBELL)
	s_mov_b32 ttmp2, m0
	s_waitcnt lgkmcnt(0)
	s_and_b32 s0, s0, 0x3ff
	s_delay_alu instid0(SALU_CYCLE_1) | instskip(NEXT) | instid1(SALU_CYCLE_1)
	s_bitset1_b32 s0, 10
	s_mov_b32 m0, s0
	s_sendmsg sendmsg(MSG_INTERRUPT)
	s_mov_b32 m0, ttmp2
.LBB6_2301:                             ; =>This Inner Loop Header: Depth=1
	s_sethalt 5
	s_branch .LBB6_2301
.LBB6_2302:
	s_trap 2
	s_sendmsg_rtn_b32 s0, sendmsg(MSG_RTN_GET_DOORBELL)
	s_mov_b32 ttmp2, m0
	s_waitcnt lgkmcnt(0)
	s_and_b32 s0, s0, 0x3ff
	s_delay_alu instid0(SALU_CYCLE_1) | instskip(NEXT) | instid1(SALU_CYCLE_1)
	s_bitset1_b32 s0, 10
	s_mov_b32 m0, s0
	s_sendmsg sendmsg(MSG_INTERRUPT)
	s_mov_b32 m0, ttmp2
.LBB6_2303:                             ; =>This Inner Loop Header: Depth=1
	s_sethalt 5
	s_branch .LBB6_2303
.LBB6_2304:
	s_trap 2
	s_sendmsg_rtn_b32 s0, sendmsg(MSG_RTN_GET_DOORBELL)
	s_mov_b32 ttmp2, m0
	s_waitcnt lgkmcnt(0)
	s_and_b32 s0, s0, 0x3ff
	s_delay_alu instid0(SALU_CYCLE_1) | instskip(NEXT) | instid1(SALU_CYCLE_1)
	s_bitset1_b32 s0, 10
	s_mov_b32 m0, s0
	s_sendmsg sendmsg(MSG_INTERRUPT)
	s_mov_b32 m0, ttmp2
.LBB6_2305:                             ; =>This Inner Loop Header: Depth=1
	s_sethalt 5
	s_branch .LBB6_2305
.LBB6_2306:
	s_trap 2
	s_sendmsg_rtn_b32 s0, sendmsg(MSG_RTN_GET_DOORBELL)
	s_mov_b32 ttmp2, m0
	s_waitcnt lgkmcnt(0)
	s_and_b32 s0, s0, 0x3ff
	s_delay_alu instid0(SALU_CYCLE_1) | instskip(NEXT) | instid1(SALU_CYCLE_1)
	s_bitset1_b32 s0, 10
	s_mov_b32 m0, s0
	s_sendmsg sendmsg(MSG_INTERRUPT)
	s_mov_b32 m0, ttmp2
.LBB6_2307:                             ; =>This Inner Loop Header: Depth=1
	s_sethalt 5
	s_branch .LBB6_2307
.LBB6_2308:
	s_trap 2
	s_sendmsg_rtn_b32 s0, sendmsg(MSG_RTN_GET_DOORBELL)
	s_mov_b32 ttmp2, m0
	s_waitcnt lgkmcnt(0)
	s_and_b32 s0, s0, 0x3ff
	s_delay_alu instid0(SALU_CYCLE_1) | instskip(NEXT) | instid1(SALU_CYCLE_1)
	s_bitset1_b32 s0, 10
	s_mov_b32 m0, s0
	s_sendmsg sendmsg(MSG_INTERRUPT)
	s_mov_b32 m0, ttmp2
.LBB6_2309:                             ; =>This Inner Loop Header: Depth=1
	s_sethalt 5
	s_branch .LBB6_2309
.LBB6_2310:
	s_trap 2
	s_sendmsg_rtn_b32 s0, sendmsg(MSG_RTN_GET_DOORBELL)
	s_mov_b32 ttmp2, m0
	s_waitcnt lgkmcnt(0)
	s_and_b32 s0, s0, 0x3ff
	s_delay_alu instid0(SALU_CYCLE_1) | instskip(NEXT) | instid1(SALU_CYCLE_1)
	s_bitset1_b32 s0, 10
	s_mov_b32 m0, s0
	s_sendmsg sendmsg(MSG_INTERRUPT)
	s_mov_b32 m0, ttmp2
.LBB6_2311:                             ; =>This Inner Loop Header: Depth=1
	s_sethalt 5
	s_branch .LBB6_2311
.LBB6_2312:
	s_trap 2
	s_sendmsg_rtn_b32 s0, sendmsg(MSG_RTN_GET_DOORBELL)
	s_mov_b32 ttmp2, m0
	s_waitcnt lgkmcnt(0)
	s_and_b32 s0, s0, 0x3ff
	s_delay_alu instid0(SALU_CYCLE_1) | instskip(NEXT) | instid1(SALU_CYCLE_1)
	s_bitset1_b32 s0, 10
	s_mov_b32 m0, s0
	s_sendmsg sendmsg(MSG_INTERRUPT)
	s_mov_b32 m0, ttmp2
.LBB6_2313:                             ; =>This Inner Loop Header: Depth=1
	s_sethalt 5
	s_branch .LBB6_2313
.LBB6_2314:
	s_trap 2
	s_sendmsg_rtn_b32 s0, sendmsg(MSG_RTN_GET_DOORBELL)
	s_mov_b32 ttmp2, m0
	s_waitcnt lgkmcnt(0)
	s_and_b32 s0, s0, 0x3ff
	s_delay_alu instid0(SALU_CYCLE_1) | instskip(NEXT) | instid1(SALU_CYCLE_1)
	s_bitset1_b32 s0, 10
	s_mov_b32 m0, s0
	s_sendmsg sendmsg(MSG_INTERRUPT)
	s_mov_b32 m0, ttmp2
.LBB6_2315:                             ; =>This Inner Loop Header: Depth=1
	s_sethalt 5
	s_branch .LBB6_2315
.LBB6_2316:
	s_trap 2
	s_sendmsg_rtn_b32 s0, sendmsg(MSG_RTN_GET_DOORBELL)
	s_mov_b32 ttmp2, m0
	s_waitcnt lgkmcnt(0)
	s_and_b32 s0, s0, 0x3ff
	s_delay_alu instid0(SALU_CYCLE_1) | instskip(NEXT) | instid1(SALU_CYCLE_1)
	s_bitset1_b32 s0, 10
	s_mov_b32 m0, s0
	s_sendmsg sendmsg(MSG_INTERRUPT)
	s_mov_b32 m0, ttmp2
.LBB6_2317:                             ; =>This Inner Loop Header: Depth=1
	s_sethalt 5
	s_branch .LBB6_2317
.Lfunc_end6:
	.size	_ZN12_GLOBAL__N_17runRingI6__half10FuncMinMaxIS1_E11ProtoSimpleILi1ELi1ELi0ELi4ELi0ELi0EELi0ELi4ELi0EEEviiP15ncclDevWorkColl, .Lfunc_end6-_ZN12_GLOBAL__N_17runRingI6__half10FuncMinMaxIS1_E11ProtoSimpleILi1ELi1ELi0ELi4ELi0ELi0EELi0ELi4ELi0EEEviiP15ncclDevWorkColl
                                        ; -- End function
	.section	.AMDGPU.csdata,"",@progbits
; Function info:
; codeLenInByte = 62328
; NumSgprs: 36
; NumVgprs: 164
; ScratchSize: 80
; MemoryBound: 1
	.text
	.p2align	2                               ; -- Begin function _Z47ncclDevFunc_Reduce_RING_SIMPLE_MinMax_f16_0_0_4v
	.type	_Z47ncclDevFunc_Reduce_RING_SIMPLE_MinMax_f16_0_0_4v,@function
_Z47ncclDevFunc_Reduce_RING_SIMPLE_MinMax_f16_0_0_4v: ; @_Z47ncclDevFunc_Reduce_RING_SIMPLE_MinMax_f16_0_0_4v
; %bb.0:
	s_waitcnt vmcnt(0) expcnt(0) lgkmcnt(0)
	s_mov_b32 s0, s33
	s_mov_b32 s33, s32
	s_or_saveexec_b32 s1, -1
	scratch_store_b32 off, v40, s33 offset:4 ; 4-byte Folded Spill
	s_mov_b32 exec_lo, s1
	v_writelane_b32 v40, s0, 8
	s_add_i32 s32, s32, 16
	scratch_store_b32 off, v41, s33         ; 4-byte Folded Spill
	v_writelane_b32 v40, s34, 0
	v_writelane_b32 v40, s35, 1
	;; [unrolled: 1-line block ×8, first 2 shown]
	s_cbranch_execnz .LBB7_7
; %bb.1:
	ds_load_b32 v0, v0
	v_and_b32_e32 v164, 0x3ff, v31
	s_mov_b32 s0, exec_lo
	s_waitcnt lgkmcnt(0)
	s_delay_alu instid0(VALU_DEP_1)
	v_cmpx_lt_i32_e64 v164, v0
	s_cbranch_execz .LBB7_9
; %bb.2:
	s_load_b32 s1, s[8:9], 0x0
	v_mov_b32_e32 v1, 0
	s_waitcnt lgkmcnt(0)
	s_cmp_lt_u32 s12, s1
	s_cselect_b32 s1, 12, 18
	s_delay_alu instid0(SALU_CYCLE_1)
	s_add_u32 s2, s8, s1
	s_addc_u32 s3, s9, 0
	s_mov_b32 s1, 0
	global_load_u16 v1, v1, s[2:3]
	s_cbranch_execnz .LBB7_24
; %bb.3:
	ds_load_b32 v2, v0
	v_mov_b32_e32 v3, v164
	s_mov_b32 s2, 0
                                        ; implicit-def: $vgpr4
	s_waitcnt vmcnt(0) lgkmcnt(0)
	v_mul_lo_u32 v2, v2, v1
	s_branch .LBB7_5
	.p2align	6
.LBB7_4:                                ;   in Loop: Header=BB7_5 Depth=1
	s_or_b32 exec_lo, exec_lo, s3
	v_add_nc_u32_e32 v3, v3, v1
	v_add_nc_u32_e32 v4, v4, v2
	s_delay_alu instid0(VALU_DEP_2) | instskip(SKIP_1) | instid1(SALU_CYCLE_1)
	v_cmp_ge_i32_e32 vcc_lo, v3, v0
	s_or_b32 s1, vcc_lo, s1
	s_and_not1_b32 exec_lo, exec_lo, s1
	s_cbranch_execz .LBB7_9
.LBB7_5:                                ; =>This Inner Loop Header: Depth=1
	ds_load_b32 v5, v4
	s_mov_b32 s3, exec_lo
	s_waitcnt lgkmcnt(0)
	v_and_b32_e32 v5, 0x1000000, v5
	s_delay_alu instid0(VALU_DEP_1)
	v_cmpx_ne_u32_e32 0, v5
	s_cbranch_execz .LBB7_4
; %bb.6:                                ;   in Loop: Header=BB7_5 Depth=1
	ds_load_b64 v[5:6], v4 offset:104
	s_waitcnt lgkmcnt(0)
	flat_load_u16 v5, v[5:6]
	s_waitcnt vmcnt(0) lgkmcnt(0)
	v_dual_mov_b32 v6, s2 :: v_dual_and_b32 v5, 0xffff, v5
	ds_store_b64 v4, v[5:6] offset:104
	s_branch .LBB7_4
.LBB7_7:
	s_trap 2
	s_sendmsg_rtn_b32 s0, sendmsg(MSG_RTN_GET_DOORBELL)
	s_mov_b32 ttmp2, m0
	s_waitcnt lgkmcnt(0)
	s_and_b32 s0, s0, 0x3ff
	s_delay_alu instid0(SALU_CYCLE_1) | instskip(NEXT) | instid1(SALU_CYCLE_1)
	s_bitset1_b32 s0, 10
	s_mov_b32 m0, s0
	s_sendmsg sendmsg(MSG_INTERRUPT)
	s_mov_b32 m0, ttmp2
.LBB7_8:                                ; =>This Inner Loop Header: Depth=1
	s_sethalt 5
	s_branch .LBB7_8
.LBB7_9:
	s_or_b32 exec_lo, exec_lo, s0
	s_waitcnt lgkmcnt(0)
	s_waitcnt_vscnt null, 0x0
	s_barrier
	buffer_gl0_inv
	s_cbranch_execnz .LBB7_22
; %bb.10:
	ds_load_b32 v0, v0
	s_waitcnt lgkmcnt(0)
	v_cmp_gt_i32_e32 vcc_lo, 1, v0
	s_cbranch_vccnz .LBB7_21
; %bb.11:
	s_mov_b32 s38, 0
	s_mov_b64 s[36:37], src_shared_base
.LBB7_12:                               ; =>This Inner Loop Header: Depth=1
	s_cbranch_execnz .LBB7_26
; %bb.13:                               ;   in Loop: Header=BB7_12 Depth=1
	ds_load_b32 v0, v0
	s_cmp_eq_u32 s38, 0
	s_cbranch_scc1 .LBB7_17
; %bb.14:                               ;   in Loop: Header=BB7_12 Depth=1
	s_cbranch_execnz .LBB7_30
; %bb.15:                               ;   in Loop: Header=BB7_12 Depth=1
	s_waitcnt lgkmcnt(0)
	ds_load_b32 v1, v0
	s_waitcnt lgkmcnt(0)
	v_xor_b32_e32 v1, v1, v0
	s_delay_alu instid0(VALU_DEP_1) | instskip(NEXT) | instid1(VALU_DEP_1)
	v_and_b32_e32 v1, 0xff0000, v1
	v_cmp_eq_u32_e32 vcc_lo, 0, v1
	s_cbranch_vccnz .LBB7_17
; %bb.16:                               ;   in Loop: Header=BB7_12 Depth=1
	s_waitcnt_vscnt null, 0x0
	s_barrier
	buffer_gl0_inv
	ds_load_b32 v0, v0
.LBB7_17:                               ;   in Loop: Header=BB7_12 Depth=1
	s_waitcnt lgkmcnt(0)
	v_lshrrev_b32_e32 v0, 11, v0
	s_mov_b32 s39, exec_lo
	s_delay_alu instid0(VALU_DEP_1) | instskip(NEXT) | instid1(VALU_DEP_1)
	v_and_b32_e32 v1, 0x1fe0, v0
	v_cmpx_lt_u32_e64 v164, v1
	s_cbranch_execz .LBB7_19
; %bb.18:                               ;   in Loop: Header=BB7_12 Depth=1
	v_dual_mov_b32 v165, v31 :: v_dual_mov_b32 v0, v164
	v_mov_b32_e32 v3, s37
	s_getpc_b64 s[0:1]
	s_add_u32 s0, s0, _ZN12_GLOBAL__N_17runRingI6__half10FuncMinMaxIS1_E11ProtoSimpleILi1ELi1ELi0ELi4ELi0ELi0EELi0ELi4ELi0EEEviiP15ncclDevWorkColl@rel32@lo+4
	s_addc_u32 s1, s1, _ZN12_GLOBAL__N_17runRingI6__half10FuncMinMaxIS1_E11ProtoSimpleILi1ELi1ELi0ELi4ELi0ELi0EELi0ELi4ELi0EEEviiP15ncclDevWorkColl@rel32@hi+12
	s_mov_b64 s[34:35], s[8:9]
	s_mov_b32 s36, s12
	s_swappc_b64 s[30:31], s[0:1]
	v_mov_b32_e32 v31, v165
	s_mov_b32 s12, s36
	s_mov_b64 s[8:9], s[34:35]
.LBB7_19:                               ;   in Loop: Header=BB7_12 Depth=1
	s_or_b32 exec_lo, exec_lo, s39
	s_cbranch_execnz .LBB7_28
; %bb.20:                               ;   in Loop: Header=BB7_12 Depth=1
	ds_load_b32 v0, v0
	s_add_i32 s38, s38, 1
	s_waitcnt lgkmcnt(0)
	v_cmp_lt_i32_e32 vcc_lo, s38, v0
	s_cbranch_vccnz .LBB7_12
.LBB7_21:
	scratch_load_b32 v41, off, s33          ; 4-byte Folded Reload
	v_readlane_b32 s30, v40, 6
	v_readlane_b32 s31, v40, 7
	;; [unrolled: 1-line block ×9, first 2 shown]
	s_or_saveexec_b32 s1, -1
	scratch_load_b32 v40, off, s33 offset:4 ; 4-byte Folded Reload
	s_mov_b32 exec_lo, s1
	s_add_i32 s32, s32, -16
	s_mov_b32 s33, s0
	s_waitcnt vmcnt(0)
	s_setpc_b64 s[30:31]
.LBB7_22:
	s_trap 2
	s_sendmsg_rtn_b32 s0, sendmsg(MSG_RTN_GET_DOORBELL)
	s_mov_b32 ttmp2, m0
	s_waitcnt lgkmcnt(0)
	s_and_b32 s0, s0, 0x3ff
	s_delay_alu instid0(SALU_CYCLE_1) | instskip(NEXT) | instid1(SALU_CYCLE_1)
	s_bitset1_b32 s0, 10
	s_mov_b32 m0, s0
	s_sendmsg sendmsg(MSG_INTERRUPT)
	s_mov_b32 m0, ttmp2
.LBB7_23:                               ; =>This Inner Loop Header: Depth=1
	s_sethalt 5
	s_branch .LBB7_23
.LBB7_24:
	s_trap 2
	s_sendmsg_rtn_b32 s0, sendmsg(MSG_RTN_GET_DOORBELL)
	s_mov_b32 ttmp2, m0
	s_waitcnt lgkmcnt(0)
	s_and_b32 s0, s0, 0x3ff
	s_delay_alu instid0(SALU_CYCLE_1) | instskip(NEXT) | instid1(SALU_CYCLE_1)
	s_bitset1_b32 s0, 10
	s_mov_b32 m0, s0
	s_sendmsg sendmsg(MSG_INTERRUPT)
	s_mov_b32 m0, ttmp2
.LBB7_25:                               ; =>This Inner Loop Header: Depth=1
	s_sethalt 5
	s_branch .LBB7_25
.LBB7_26:
	s_trap 2
	s_sendmsg_rtn_b32 s0, sendmsg(MSG_RTN_GET_DOORBELL)
	s_mov_b32 ttmp2, m0
	s_waitcnt lgkmcnt(0)
	s_and_b32 s0, s0, 0x3ff
	s_delay_alu instid0(SALU_CYCLE_1) | instskip(NEXT) | instid1(SALU_CYCLE_1)
	s_bitset1_b32 s0, 10
	s_mov_b32 m0, s0
	s_sendmsg sendmsg(MSG_INTERRUPT)
	s_mov_b32 m0, ttmp2
.LBB7_27:                               ; =>This Inner Loop Header: Depth=1
	s_sethalt 5
	s_branch .LBB7_27
.LBB7_28:
	s_trap 2
	s_sendmsg_rtn_b32 s0, sendmsg(MSG_RTN_GET_DOORBELL)
	s_mov_b32 ttmp2, m0
	s_waitcnt lgkmcnt(0)
	s_and_b32 s0, s0, 0x3ff
	s_delay_alu instid0(SALU_CYCLE_1) | instskip(NEXT) | instid1(SALU_CYCLE_1)
	s_bitset1_b32 s0, 10
	s_mov_b32 m0, s0
	s_sendmsg sendmsg(MSG_INTERRUPT)
	s_mov_b32 m0, ttmp2
.LBB7_29:                               ; =>This Inner Loop Header: Depth=1
	s_sethalt 5
	s_branch .LBB7_29
.LBB7_30:
	s_trap 2
	s_sendmsg_rtn_b32 s0, sendmsg(MSG_RTN_GET_DOORBELL)
	s_mov_b32 ttmp2, m0
	s_waitcnt lgkmcnt(0)
	s_and_b32 s0, s0, 0x3ff
	s_delay_alu instid0(SALU_CYCLE_1) | instskip(NEXT) | instid1(SALU_CYCLE_1)
	s_bitset1_b32 s0, 10
	s_mov_b32 m0, s0
	s_sendmsg sendmsg(MSG_INTERRUPT)
	s_mov_b32 m0, ttmp2
.LBB7_31:                               ; =>This Inner Loop Header: Depth=1
	s_sethalt 5
	s_branch .LBB7_31
.Lfunc_end7:
	.size	_Z47ncclDevFunc_Reduce_RING_SIMPLE_MinMax_f16_0_0_4v, .Lfunc_end7-_Z47ncclDevFunc_Reduce_RING_SIMPLE_MinMax_f16_0_0_4v
                                        ; -- End function
	.section	.AMDGPU.csdata,"",@progbits
; Function info:
; codeLenInByte = 1048
; NumSgprs: 42
; NumVgprs: 166
; ScratchSize: 96
; MemoryBound: 0
	.text
	.p2alignl 7, 3214868480
	.fill 96, 4, 3214868480
	.type	__const.__assert_fail.fmt,@object ; @__const.__assert_fail.fmt
	.section	.rodata.str1.16,"aMS",@progbits,1
	.p2align	4, 0x0
__const.__assert_fail.fmt:
	.asciz	"%s:%u: %s: Device-side assertion `%s' failed.\n"
	.size	__const.__assert_fail.fmt, 47

	.type	.str.1,@object                  ; @.str.1
	.section	.rodata.str1.1,"aMS",@progbits,1
.str.1:
	.asciz	"2*(nrecv+nsend) <= nthreads"
	.size	.str.1, 28

	.type	.str.2,@object                  ; @.str.2
.str.2:
	.asciz	"/root/src/amdgpu-assembly/repos/ROCm__rccl/hipify/src/device/prims_simple.h"
	.size	.str.2, 76

	.type	__PRETTY_FUNCTION__._ZN10PrimitivesI6__half10FuncMinMaxIS0_E12FanSymmetricILi1EELi0E11ProtoSimpleILi1ELi1ELi0ELi1ELi0ELi0EELi0ELb0ELi0ELi0ELi0EEC2EiiPKiS9_PKvPvmhhhP15ncclDevWorkCollP14ncclDevWorkP2pii,@object ; @__PRETTY_FUNCTION__._ZN10PrimitivesI6__half10FuncMinMaxIS0_E12FanSymmetricILi1EELi0E11ProtoSimpleILi1ELi1ELi0ELi1ELi0ELi0EELi0ELb0ELi0ELi0ELi0EEC2EiiPKiS9_PKvPvmhhhP15ncclDevWorkCollP14ncclDevWorkP2pii
__PRETTY_FUNCTION__._ZN10PrimitivesI6__half10FuncMinMaxIS0_E12FanSymmetricILi1EELi0E11ProtoSimpleILi1ELi1ELi0ELi1ELi0ELi0EELi0ELb0ELi0ELi0ELi0EEC2EiiPKiS9_PKvPvmhhhP15ncclDevWorkCollP14ncclDevWorkP2pii:
	.asciz	"Primitives<__half, FuncMinMax<__half>, FanSymmetric<1>, 0, ProtoSimple<1, 1, 0, 1>, 0>::Primitives(int, int, const int *, const int *, const void *, void *, uint64_t, uint8_t, uint8_t, uint8_t, struct ncclDevWorkColl *, struct ncclDevWorkP2p *, int, int) [T = __half, RedOp = FuncMinMax<__half>, Fan = FanSymmetric<1>, Direct = 0, Proto = ProtoSimple<1, 1, 0, 1>, P2p = 0, isNetOffload = false, Metadata = 0, Pipeline = 0, useAcc = 0]"
	.size	__PRETTY_FUNCTION__._ZN10PrimitivesI6__half10FuncMinMaxIS0_E12FanSymmetricILi1EELi0E11ProtoSimpleILi1ELi1ELi0ELi1ELi0ELi0EELi0ELb0ELi0ELi0ELi0EEC2EiiPKiS9_PKvPvmhhhP15ncclDevWorkCollP14ncclDevWorkP2pii, 435

	.type	__PRETTY_FUNCTION__._ZN10PrimitivesI6__half10FuncMinMaxIS0_E12FanSymmetricILi1EELi0E11ProtoSimpleILi1ELi1ELi0ELi2ELi0ELi0EELi0ELb0ELi0ELi0ELi0EEC2EiiPKiS9_PKvPvmhhhP15ncclDevWorkCollP14ncclDevWorkP2pii,@object ; @__PRETTY_FUNCTION__._ZN10PrimitivesI6__half10FuncMinMaxIS0_E12FanSymmetricILi1EELi0E11ProtoSimpleILi1ELi1ELi0ELi2ELi0ELi0EELi0ELb0ELi0ELi0ELi0EEC2EiiPKiS9_PKvPvmhhhP15ncclDevWorkCollP14ncclDevWorkP2pii
__PRETTY_FUNCTION__._ZN10PrimitivesI6__half10FuncMinMaxIS0_E12FanSymmetricILi1EELi0E11ProtoSimpleILi1ELi1ELi0ELi2ELi0ELi0EELi0ELb0ELi0ELi0ELi0EEC2EiiPKiS9_PKvPvmhhhP15ncclDevWorkCollP14ncclDevWorkP2pii:
	.asciz	"Primitives<__half, FuncMinMax<__half>, FanSymmetric<1>, 0, ProtoSimple<1, 1, 0, 2>, 0>::Primitives(int, int, const int *, const int *, const void *, void *, uint64_t, uint8_t, uint8_t, uint8_t, struct ncclDevWorkColl *, struct ncclDevWorkP2p *, int, int) [T = __half, RedOp = FuncMinMax<__half>, Fan = FanSymmetric<1>, Direct = 0, Proto = ProtoSimple<1, 1, 0, 2>, P2p = 0, isNetOffload = false, Metadata = 0, Pipeline = 0, useAcc = 0]"
	.size	__PRETTY_FUNCTION__._ZN10PrimitivesI6__half10FuncMinMaxIS0_E12FanSymmetricILi1EELi0E11ProtoSimpleILi1ELi1ELi0ELi2ELi0ELi0EELi0ELb0ELi0ELi0ELi0EEC2EiiPKiS9_PKvPvmhhhP15ncclDevWorkCollP14ncclDevWorkP2pii, 435

	.type	__PRETTY_FUNCTION__._ZN10PrimitivesI6__half10FuncMinMaxIS0_E12FanSymmetricILi1EELi0E11ProtoSimpleILi1ELi1ELi0ELi4ELi0ELi0EELi0ELb0ELi0ELi0ELi0EEC2EiiPKiS9_PKvPvmhhhP15ncclDevWorkCollP14ncclDevWorkP2pii,@object ; @__PRETTY_FUNCTION__._ZN10PrimitivesI6__half10FuncMinMaxIS0_E12FanSymmetricILi1EELi0E11ProtoSimpleILi1ELi1ELi0ELi4ELi0ELi0EELi0ELb0ELi0ELi0ELi0EEC2EiiPKiS9_PKvPvmhhhP15ncclDevWorkCollP14ncclDevWorkP2pii
__PRETTY_FUNCTION__._ZN10PrimitivesI6__half10FuncMinMaxIS0_E12FanSymmetricILi1EELi0E11ProtoSimpleILi1ELi1ELi0ELi4ELi0ELi0EELi0ELb0ELi0ELi0ELi0EEC2EiiPKiS9_PKvPvmhhhP15ncclDevWorkCollP14ncclDevWorkP2pii:
	.asciz	"Primitives<__half, FuncMinMax<__half>, FanSymmetric<1>, 0, ProtoSimple<1, 1, 0, 4>, 0>::Primitives(int, int, const int *, const int *, const void *, void *, uint64_t, uint8_t, uint8_t, uint8_t, struct ncclDevWorkColl *, struct ncclDevWorkP2p *, int, int) [T = __half, RedOp = FuncMinMax<__half>, Fan = FanSymmetric<1>, Direct = 0, Proto = ProtoSimple<1, 1, 0, 4>, P2p = 0, isNetOffload = false, Metadata = 0, Pipeline = 0, useAcc = 0]"
	.size	__PRETTY_FUNCTION__._ZN10PrimitivesI6__half10FuncMinMaxIS0_E12FanSymmetricILi1EELi0E11ProtoSimpleILi1ELi1ELi0ELi4ELi0ELi0EELi0ELb0ELi0ELi0ELi0EEC2EiiPKiS9_PKvPvmhhhP15ncclDevWorkCollP14ncclDevWorkP2pii, 435

	.type	__hip_cuid_5349b48a9dbbe86d,@object ; @__hip_cuid_5349b48a9dbbe86d
	.section	.bss,"aw",@nobits
	.globl	__hip_cuid_5349b48a9dbbe86d
__hip_cuid_5349b48a9dbbe86d:
	.byte	0                               ; 0x0
	.size	__hip_cuid_5349b48a9dbbe86d, 1

	.ident	"AMD clang version 19.0.0git (https://github.com/RadeonOpenCompute/llvm-project roc-6.4.0 25133 c7fe45cf4b819c5991fe208aaa96edf142730f1d)"
	.section	".note.GNU-stack","",@progbits
	.addrsig
	.addrsig_sym _Z47ncclDevFunc_Reduce_RING_SIMPLE_MinMax_f16_0_0_1v
	.addrsig_sym _Z47ncclDevFunc_Reduce_RING_SIMPLE_MinMax_f16_0_0_2v
	.addrsig_sym _Z47ncclDevFunc_Reduce_RING_SIMPLE_MinMax_f16_0_0_4v
	.addrsig_sym ncclShmem
	.addrsig_sym __hip_cuid_5349b48a9dbbe86d
	.amdgpu_metadata
---
amdhsa.kernels:  []
amdhsa.target:   amdgcn-amd-amdhsa--gfx1100
amdhsa.version:
  - 1
  - 2
...

	.end_amdgpu_metadata
